;; amdgpu-corpus repo=ROCm/rocFFT kind=compiled arch=gfx906 opt=O3
	.text
	.amdgcn_target "amdgcn-amd-amdhsa--gfx906"
	.amdhsa_code_object_version 6
	.protected	fft_rtc_back_len1764_factors_2_2_3_3_7_7_wgs_126_tpt_126_halfLds_half_op_CI_CI_unitstride_sbrr_C2R_dirReg ; -- Begin function fft_rtc_back_len1764_factors_2_2_3_3_7_7_wgs_126_tpt_126_halfLds_half_op_CI_CI_unitstride_sbrr_C2R_dirReg
	.globl	fft_rtc_back_len1764_factors_2_2_3_3_7_7_wgs_126_tpt_126_halfLds_half_op_CI_CI_unitstride_sbrr_C2R_dirReg
	.p2align	8
	.type	fft_rtc_back_len1764_factors_2_2_3_3_7_7_wgs_126_tpt_126_halfLds_half_op_CI_CI_unitstride_sbrr_C2R_dirReg,@function
fft_rtc_back_len1764_factors_2_2_3_3_7_7_wgs_126_tpt_126_halfLds_half_op_CI_CI_unitstride_sbrr_C2R_dirReg: ; @fft_rtc_back_len1764_factors_2_2_3_3_7_7_wgs_126_tpt_126_halfLds_half_op_CI_CI_unitstride_sbrr_C2R_dirReg
; %bb.0:
	s_load_dwordx4 s[8:11], s[4:5], 0x58
	s_load_dwordx4 s[12:15], s[4:5], 0x0
	;; [unrolled: 1-line block ×3, first 2 shown]
	v_mul_u32_u24_e32 v1, 0x209, v0
	v_mov_b32_e32 v8, 0
	v_mov_b32_e32 v6, 0
	s_waitcnt lgkmcnt(0)
	v_cmp_lt_u64_e64 s[0:1], s[14:15], 2
	v_add_u32_sdwa v10, s6, v1 dst_sel:DWORD dst_unused:UNUSED_PAD src0_sel:DWORD src1_sel:WORD_1
	v_mov_b32_e32 v11, v8
	s_and_b64 vcc, exec, s[0:1]
	v_mov_b32_e32 v7, 0
	s_cbranch_vccnz .LBB0_8
; %bb.1:
	s_load_dwordx2 s[0:1], s[4:5], 0x10
	s_add_u32 s2, s18, 8
	s_addc_u32 s3, s19, 0
	s_add_u32 s6, s16, 8
	s_addc_u32 s7, s17, 0
	v_mov_b32_e32 v6, 0
	s_waitcnt lgkmcnt(0)
	s_add_u32 s20, s0, 8
	v_mov_b32_e32 v7, 0
	v_mov_b32_e32 v1, v6
	s_addc_u32 s21, s1, 0
	s_mov_b64 s[22:23], 1
	v_mov_b32_e32 v2, v7
.LBB0_2:                                ; =>This Inner Loop Header: Depth=1
	s_load_dwordx2 s[24:25], s[20:21], 0x0
                                        ; implicit-def: $vgpr3_vgpr4
	s_waitcnt lgkmcnt(0)
	v_or_b32_e32 v9, s25, v11
	v_cmp_ne_u64_e32 vcc, 0, v[8:9]
	s_and_saveexec_b64 s[0:1], vcc
	s_xor_b64 s[26:27], exec, s[0:1]
	s_cbranch_execz .LBB0_4
; %bb.3:                                ;   in Loop: Header=BB0_2 Depth=1
	v_cvt_f32_u32_e32 v3, s24
	v_cvt_f32_u32_e32 v4, s25
	s_sub_u32 s0, 0, s24
	s_subb_u32 s1, 0, s25
	v_mac_f32_e32 v3, 0x4f800000, v4
	v_rcp_f32_e32 v3, v3
	v_mul_f32_e32 v3, 0x5f7ffffc, v3
	v_mul_f32_e32 v4, 0x2f800000, v3
	v_trunc_f32_e32 v4, v4
	v_mac_f32_e32 v3, 0xcf800000, v4
	v_cvt_u32_f32_e32 v4, v4
	v_cvt_u32_f32_e32 v3, v3
	v_mul_lo_u32 v5, s0, v4
	v_mul_hi_u32 v9, s0, v3
	v_mul_lo_u32 v13, s1, v3
	v_mul_lo_u32 v12, s0, v3
	v_add_u32_e32 v5, v9, v5
	v_add_u32_e32 v5, v5, v13
	v_mul_hi_u32 v9, v3, v12
	v_mul_lo_u32 v13, v3, v5
	v_mul_hi_u32 v15, v3, v5
	v_mul_hi_u32 v14, v4, v12
	v_mul_lo_u32 v12, v4, v12
	v_mul_hi_u32 v16, v4, v5
	v_add_co_u32_e32 v9, vcc, v9, v13
	v_addc_co_u32_e32 v13, vcc, 0, v15, vcc
	v_mul_lo_u32 v5, v4, v5
	v_add_co_u32_e32 v9, vcc, v9, v12
	v_addc_co_u32_e32 v9, vcc, v13, v14, vcc
	v_addc_co_u32_e32 v12, vcc, 0, v16, vcc
	v_add_co_u32_e32 v5, vcc, v9, v5
	v_addc_co_u32_e32 v9, vcc, 0, v12, vcc
	v_add_co_u32_e32 v3, vcc, v3, v5
	v_addc_co_u32_e32 v4, vcc, v4, v9, vcc
	v_mul_lo_u32 v5, s0, v4
	v_mul_hi_u32 v9, s0, v3
	v_mul_lo_u32 v12, s1, v3
	v_mul_lo_u32 v13, s0, v3
	v_add_u32_e32 v5, v9, v5
	v_add_u32_e32 v5, v5, v12
	v_mul_lo_u32 v14, v3, v5
	v_mul_hi_u32 v15, v3, v13
	v_mul_hi_u32 v16, v3, v5
	v_mul_hi_u32 v12, v4, v13
	v_mul_lo_u32 v13, v4, v13
	v_mul_hi_u32 v9, v4, v5
	v_add_co_u32_e32 v14, vcc, v15, v14
	v_addc_co_u32_e32 v15, vcc, 0, v16, vcc
	v_mul_lo_u32 v5, v4, v5
	v_add_co_u32_e32 v13, vcc, v14, v13
	v_addc_co_u32_e32 v12, vcc, v15, v12, vcc
	v_addc_co_u32_e32 v9, vcc, 0, v9, vcc
	v_add_co_u32_e32 v5, vcc, v12, v5
	v_addc_co_u32_e32 v9, vcc, 0, v9, vcc
	v_add_co_u32_e32 v5, vcc, v3, v5
	v_addc_co_u32_e32 v9, vcc, v4, v9, vcc
	v_mad_u64_u32 v[3:4], s[0:1], v10, v9, 0
	v_mul_hi_u32 v12, v10, v5
	v_add_co_u32_e32 v14, vcc, v12, v3
	v_addc_co_u32_e32 v15, vcc, 0, v4, vcc
	v_mad_u64_u32 v[3:4], s[0:1], v11, v5, 0
	v_mad_u64_u32 v[12:13], s[0:1], v11, v9, 0
	v_add_co_u32_e32 v3, vcc, v14, v3
	v_addc_co_u32_e32 v3, vcc, v15, v4, vcc
	v_addc_co_u32_e32 v4, vcc, 0, v13, vcc
	v_add_co_u32_e32 v5, vcc, v3, v12
	v_addc_co_u32_e32 v9, vcc, 0, v4, vcc
	v_mul_lo_u32 v12, s25, v5
	v_mul_lo_u32 v13, s24, v9
	v_mad_u64_u32 v[3:4], s[0:1], s24, v5, 0
	v_add3_u32 v4, v4, v13, v12
	v_sub_u32_e32 v12, v11, v4
	v_mov_b32_e32 v13, s25
	v_sub_co_u32_e32 v3, vcc, v10, v3
	v_subb_co_u32_e64 v12, s[0:1], v12, v13, vcc
	v_subrev_co_u32_e64 v13, s[0:1], s24, v3
	v_subbrev_co_u32_e64 v12, s[0:1], 0, v12, s[0:1]
	v_cmp_le_u32_e64 s[0:1], s25, v12
	v_cndmask_b32_e64 v14, 0, -1, s[0:1]
	v_cmp_le_u32_e64 s[0:1], s24, v13
	v_cndmask_b32_e64 v13, 0, -1, s[0:1]
	v_cmp_eq_u32_e64 s[0:1], s25, v12
	v_cndmask_b32_e64 v12, v14, v13, s[0:1]
	v_add_co_u32_e64 v13, s[0:1], 2, v5
	v_addc_co_u32_e64 v14, s[0:1], 0, v9, s[0:1]
	v_add_co_u32_e64 v15, s[0:1], 1, v5
	v_addc_co_u32_e64 v16, s[0:1], 0, v9, s[0:1]
	v_subb_co_u32_e32 v4, vcc, v11, v4, vcc
	v_cmp_ne_u32_e64 s[0:1], 0, v12
	v_cmp_le_u32_e32 vcc, s25, v4
	v_cndmask_b32_e64 v12, v16, v14, s[0:1]
	v_cndmask_b32_e64 v14, 0, -1, vcc
	v_cmp_le_u32_e32 vcc, s24, v3
	v_cndmask_b32_e64 v3, 0, -1, vcc
	v_cmp_eq_u32_e32 vcc, s25, v4
	v_cndmask_b32_e32 v3, v14, v3, vcc
	v_cmp_ne_u32_e32 vcc, 0, v3
	v_cndmask_b32_e64 v3, v15, v13, s[0:1]
	v_cndmask_b32_e32 v4, v9, v12, vcc
	v_cndmask_b32_e32 v3, v5, v3, vcc
.LBB0_4:                                ;   in Loop: Header=BB0_2 Depth=1
	s_andn2_saveexec_b64 s[0:1], s[26:27]
	s_cbranch_execz .LBB0_6
; %bb.5:                                ;   in Loop: Header=BB0_2 Depth=1
	v_cvt_f32_u32_e32 v3, s24
	s_sub_i32 s26, 0, s24
	v_rcp_iflag_f32_e32 v3, v3
	v_mul_f32_e32 v3, 0x4f7ffffe, v3
	v_cvt_u32_f32_e32 v3, v3
	v_mul_lo_u32 v4, s26, v3
	v_mul_hi_u32 v4, v3, v4
	v_add_u32_e32 v3, v3, v4
	v_mul_hi_u32 v3, v10, v3
	v_mul_lo_u32 v4, v3, s24
	v_add_u32_e32 v5, 1, v3
	v_sub_u32_e32 v4, v10, v4
	v_subrev_u32_e32 v9, s24, v4
	v_cmp_le_u32_e32 vcc, s24, v4
	v_cndmask_b32_e32 v4, v4, v9, vcc
	v_cndmask_b32_e32 v3, v3, v5, vcc
	v_add_u32_e32 v5, 1, v3
	v_cmp_le_u32_e32 vcc, s24, v4
	v_cndmask_b32_e32 v3, v3, v5, vcc
	v_mov_b32_e32 v4, v8
.LBB0_6:                                ;   in Loop: Header=BB0_2 Depth=1
	s_or_b64 exec, exec, s[0:1]
	v_mul_lo_u32 v5, v4, s24
	v_mul_lo_u32 v9, v3, s25
	v_mad_u64_u32 v[12:13], s[0:1], v3, s24, 0
	s_load_dwordx2 s[0:1], s[6:7], 0x0
	s_load_dwordx2 s[24:25], s[2:3], 0x0
	v_add3_u32 v5, v13, v9, v5
	v_sub_co_u32_e32 v9, vcc, v10, v12
	v_subb_co_u32_e32 v5, vcc, v11, v5, vcc
	s_waitcnt lgkmcnt(0)
	v_mul_lo_u32 v10, s0, v5
	v_mul_lo_u32 v11, s1, v9
	v_mad_u64_u32 v[6:7], s[0:1], s0, v9, v[6:7]
	s_add_u32 s22, s22, 1
	s_addc_u32 s23, s23, 0
	s_add_u32 s2, s2, 8
	v_mul_lo_u32 v5, s24, v5
	v_mul_lo_u32 v12, s25, v9
	v_mad_u64_u32 v[1:2], s[0:1], s24, v9, v[1:2]
	v_add3_u32 v7, v11, v7, v10
	s_addc_u32 s3, s3, 0
	v_mov_b32_e32 v9, s14
	s_add_u32 s6, s6, 8
	v_mov_b32_e32 v10, s15
	s_addc_u32 s7, s7, 0
	v_cmp_ge_u64_e32 vcc, s[22:23], v[9:10]
	s_add_u32 s20, s20, 8
	v_add3_u32 v2, v12, v2, v5
	s_addc_u32 s21, s21, 0
	s_cbranch_vccnz .LBB0_9
; %bb.7:                                ;   in Loop: Header=BB0_2 Depth=1
	v_mov_b32_e32 v11, v4
	v_mov_b32_e32 v10, v3
	s_branch .LBB0_2
.LBB0_8:
	v_mov_b32_e32 v1, v6
	v_mov_b32_e32 v3, v10
	;; [unrolled: 1-line block ×4, first 2 shown]
.LBB0_9:
	s_load_dwordx2 s[4:5], s[4:5], 0x28
	s_lshl_b64 s[6:7], s[14:15], 3
	s_add_u32 s2, s18, s6
	s_addc_u32 s3, s19, s7
                                        ; implicit-def: $vgpr5
	s_waitcnt lgkmcnt(0)
	v_cmp_gt_u64_e64 s[0:1], s[4:5], v[3:4]
	v_cmp_le_u64_e32 vcc, s[4:5], v[3:4]
	s_and_saveexec_b64 s[4:5], vcc
	s_xor_b64 s[4:5], exec, s[4:5]
; %bb.10:
	s_mov_b32 s14, 0x2082083
	v_mul_hi_u32 v5, v0, s14
                                        ; implicit-def: $vgpr6_vgpr7
	v_mul_u32_u24_e32 v5, 0x7e, v5
	v_sub_u32_e32 v5, v0, v5
                                        ; implicit-def: $vgpr0
; %bb.11:
	s_or_saveexec_b64 s[4:5], s[4:5]
	s_load_dwordx2 s[2:3], s[2:3], 0x0
	s_xor_b64 exec, exec, s[4:5]
	s_cbranch_execz .LBB0_15
; %bb.12:
	s_add_u32 s6, s16, s6
	s_addc_u32 s7, s17, s7
	s_load_dwordx2 s[6:7], s[6:7], 0x0
	s_mov_b32 s14, 0x2082083
	v_mul_hi_u32 v5, v0, s14
	v_lshlrev_b64 v[6:7], 2, v[6:7]
	s_waitcnt lgkmcnt(0)
	v_mul_lo_u32 v10, s7, v3
	v_mul_lo_u32 v11, s6, v4
	v_mad_u64_u32 v[8:9], s[6:7], s6, v3, 0
	v_mul_u32_u24_e32 v5, 0x7e, v5
	v_sub_u32_e32 v5, v0, v5
	v_add3_u32 v9, v9, v11, v10
	v_lshlrev_b64 v[8:9], 2, v[8:9]
	v_mov_b32_e32 v0, s9
	v_add_co_u32_e32 v8, vcc, s8, v8
	v_addc_co_u32_e32 v0, vcc, v0, v9, vcc
	v_add_co_u32_e32 v6, vcc, v8, v6
	v_addc_co_u32_e32 v0, vcc, v0, v7, vcc
	v_lshlrev_b32_e32 v11, 2, v5
	v_add_co_u32_e32 v7, vcc, v6, v11
	v_addc_co_u32_e32 v8, vcc, 0, v0, vcc
	s_movk_i32 s6, 0x1000
	v_add_co_u32_e32 v9, vcc, s6, v7
	global_load_dword v12, v[7:8], off
	global_load_dword v13, v[7:8], off offset:504
	global_load_dword v14, v[7:8], off offset:1008
	;; [unrolled: 1-line block ×7, first 2 shown]
	v_addc_co_u32_e32 v10, vcc, 0, v8, vcc
	global_load_dword v20, v[7:8], off offset:4032
	global_load_dword v21, v[9:10], off offset:440
	global_load_dword v22, v[9:10], off offset:944
	global_load_dword v23, v[9:10], off offset:1448
	global_load_dword v24, v[9:10], off offset:1952
	global_load_dword v25, v[9:10], off offset:2456
	s_movk_i32 s6, 0x7d
	v_add_u32_e32 v7, 0, v11
	v_cmp_eq_u32_e32 vcc, s6, v5
	v_add_u32_e32 v8, 0x200, v7
	v_add_u32_e32 v9, 0x600, v7
	;; [unrolled: 1-line block ×6, first 2 shown]
	s_waitcnt vmcnt(12)
	ds_write2_b32 v7, v12, v13 offset1:126
	s_waitcnt vmcnt(10)
	ds_write2_b32 v8, v14, v15 offset0:124 offset1:250
	s_waitcnt vmcnt(8)
	ds_write2_b32 v9, v16, v17 offset0:120 offset1:246
	;; [unrolled: 2-line block ×6, first 2 shown]
	s_and_saveexec_b64 s[6:7], vcc
	s_cbranch_execz .LBB0_14
; %bb.13:
	v_add_co_u32_e32 v5, vcc, 0x1000, v6
	v_addc_co_u32_e32 v6, vcc, 0, v0, vcc
	global_load_dword v0, v[5:6], off offset:2960
	v_mov_b32_e32 v5, 0
	s_waitcnt vmcnt(0)
	ds_write_b32 v5, v0 offset:7056
	v_mov_b32_e32 v5, 0x7d
.LBB0_14:
	s_or_b64 exec, exec, s[6:7]
.LBB0_15:
	s_or_b64 exec, exec, s[4:5]
	v_lshlrev_b32_e32 v6, 2, v5
	v_add_u32_e32 v0, 0, v6
	s_waitcnt lgkmcnt(0)
	s_barrier
	v_sub_u32_e32 v8, 0, v6
	ds_read_u16 v11, v0
	ds_read_u16 v12, v8 offset:7056
	s_add_u32 s6, s12, 0x1b88
	s_addc_u32 s7, s13, 0
	v_cmp_ne_u32_e32 vcc, 0, v5
                                        ; implicit-def: $vgpr6_vgpr7
	s_waitcnt lgkmcnt(0)
	v_add_f16_e32 v9, v12, v11
	v_sub_f16_e32 v10, v11, v12
	s_and_saveexec_b64 s[4:5], vcc
	s_xor_b64 s[4:5], exec, s[4:5]
	s_cbranch_execz .LBB0_17
; %bb.16:
	v_mov_b32_e32 v6, 0
	v_lshlrev_b64 v[9:10], 2, v[5:6]
	v_mov_b32_e32 v7, s7
	v_add_co_u32_e32 v9, vcc, s6, v9
	v_addc_co_u32_e32 v10, vcc, v7, v10, vcc
	global_load_dword v7, v[9:10], off
	ds_read_u16 v9, v8 offset:7058
	ds_read_u16 v10, v0 offset:2
	v_add_f16_e32 v13, v12, v11
	v_sub_f16_e32 v11, v11, v12
	s_waitcnt lgkmcnt(0)
	v_add_f16_e32 v12, v9, v10
	v_sub_f16_e32 v9, v10, v9
	s_waitcnt vmcnt(0)
	v_lshrrev_b32_e32 v10, 16, v7
	v_fma_f16 v14, v11, v10, v13
	v_fma_f16 v15, v12, v10, v9
	v_fma_f16 v13, -v11, v10, v13
	v_fma_f16 v16, v12, v10, -v9
	v_fma_f16 v9, -v7, v12, v14
	v_fma_f16 v10, v11, v7, v15
	v_fma_f16 v12, v7, v12, v13
	;; [unrolled: 1-line block ×3, first 2 shown]
	v_pack_b32_f16 v7, v12, v7
	ds_write_b32 v8, v7 offset:7056
	v_mov_b32_e32 v7, v6
	v_mov_b32_e32 v6, v5
.LBB0_17:
	s_andn2_saveexec_b64 s[4:5], s[4:5]
	s_cbranch_execz .LBB0_19
; %bb.18:
	v_mov_b32_e32 v11, 0
	ds_read_b32 v6, v11 offset:3528
	s_mov_b32 s8, 0xc0004000
	s_waitcnt lgkmcnt(0)
	v_pk_mul_f16 v12, v6, s8
	v_mov_b32_e32 v6, 0
	v_mov_b32_e32 v7, 0
	ds_write_b32 v11, v12 offset:3528
.LBB0_19:
	s_or_b64 exec, exec, s[4:5]
	v_lshlrev_b64 v[6:7], 2, v[6:7]
	v_mov_b32_e32 v11, s7
	v_add_co_u32_e32 v6, vcc, s6, v6
	v_addc_co_u32_e32 v7, vcc, v11, v7, vcc
	global_load_dword v11, v[6:7], off offset:504
	global_load_dword v12, v[6:7], off offset:1008
	;; [unrolled: 1-line block ×4, first 2 shown]
	s_mov_b32 s4, 0x5040100
	v_perm_b32 v9, v10, v9, s4
	ds_write_b32 v0, v9
	ds_read_b32 v9, v0 offset:504
	ds_read_b32 v10, v8 offset:6552
	global_load_dword v15, v[6:7], off offset:2520
	global_load_dword v16, v[6:7], off offset:3024
	v_add_u32_e32 v24, 0xe00, v0
	v_add_u32_e32 v26, 0x200, v0
	v_add_u32_e32 v27, 0x1200, v0
	s_waitcnt lgkmcnt(0)
	v_add_f16_e32 v6, v9, v10
	v_add_f16_sdwa v7, v10, v9 dst_sel:DWORD dst_unused:UNUSED_PAD src0_sel:WORD_1 src1_sel:WORD_1
	v_sub_f16_e32 v17, v9, v10
	v_sub_f16_sdwa v9, v9, v10 dst_sel:DWORD dst_unused:UNUSED_PAD src0_sel:WORD_1 src1_sel:WORD_1
	v_add_u32_e32 v25, 0x600, v0
	v_add_u32_e32 v28, 0x1600, v0
	;; [unrolled: 1-line block ×5, first 2 shown]
	s_movk_i32 s5, 0xfc
	s_mov_b32 s4, 0xffff
	s_movk_i32 s6, 0x5fc
	s_waitcnt vmcnt(5)
	v_lshrrev_b32_e32 v10, 16, v11
	v_fma_f16 v18, v17, v10, v6
	v_fma_f16 v19, v7, v10, v9
	v_fma_f16 v6, -v17, v10, v6
	v_fma_f16 v9, v7, v10, -v9
	v_fma_f16 v10, -v11, v7, v18
	v_fma_f16 v18, v17, v11, v19
	v_fma_f16 v6, v11, v7, v6
	;; [unrolled: 1-line block ×3, first 2 shown]
	v_pack_b32_f16 v9, v10, v18
	v_pack_b32_f16 v6, v6, v7
	ds_write_b32 v0, v9 offset:504
	ds_write_b32 v8, v6 offset:6552
	ds_read_b32 v6, v0 offset:1008
	ds_read_b32 v7, v8 offset:6048
	s_waitcnt vmcnt(4)
	v_lshrrev_b32_e32 v9, 16, v12
	v_lshl_add_u32 v19, v5, 2, v0
	s_waitcnt lgkmcnt(0)
	v_add_f16_e32 v10, v6, v7
	v_add_f16_sdwa v11, v7, v6 dst_sel:DWORD dst_unused:UNUSED_PAD src0_sel:WORD_1 src1_sel:WORD_1
	v_sub_f16_e32 v17, v6, v7
	v_sub_f16_sdwa v6, v6, v7 dst_sel:DWORD dst_unused:UNUSED_PAD src0_sel:WORD_1 src1_sel:WORD_1
	v_fma_f16 v7, v17, v9, v10
	v_fma_f16 v18, v11, v9, v6
	v_fma_f16 v10, -v17, v9, v10
	v_fma_f16 v6, v11, v9, -v6
	v_fma_f16 v7, -v12, v11, v7
	v_fma_f16 v9, v17, v12, v18
	v_fma_f16 v10, v12, v11, v10
	v_fma_f16 v6, v17, v12, v6
	v_pack_b32_f16 v7, v7, v9
	v_pack_b32_f16 v6, v10, v6
	ds_write_b32 v0, v7 offset:1008
	ds_write_b32 v8, v6 offset:6048
	ds_read_b32 v6, v0 offset:1512
	ds_read_b32 v7, v8 offset:5544
	s_waitcnt vmcnt(3)
	v_lshrrev_b32_e32 v9, 16, v13
	v_add_u32_e32 v18, 0x7e, v5
	s_waitcnt lgkmcnt(0)
	v_add_f16_e32 v10, v6, v7
	v_add_f16_sdwa v11, v7, v6 dst_sel:DWORD dst_unused:UNUSED_PAD src0_sel:WORD_1 src1_sel:WORD_1
	v_sub_f16_e32 v12, v6, v7
	v_sub_f16_sdwa v6, v6, v7 dst_sel:DWORD dst_unused:UNUSED_PAD src0_sel:WORD_1 src1_sel:WORD_1
	v_fma_f16 v7, v12, v9, v10
	v_fma_f16 v17, v11, v9, v6
	v_fma_f16 v10, -v12, v9, v10
	v_fma_f16 v6, v11, v9, -v6
	v_fma_f16 v7, -v13, v11, v7
	v_fma_f16 v9, v12, v13, v17
	v_fma_f16 v10, v13, v11, v10
	;; [unrolled: 1-line block ×3, first 2 shown]
	v_pack_b32_f16 v7, v7, v9
	v_pack_b32_f16 v6, v10, v6
	ds_write_b32 v0, v7 offset:1512
	ds_write_b32 v8, v6 offset:5544
	ds_read_b32 v6, v0 offset:2016
	ds_read_b32 v7, v8 offset:5040
	s_waitcnt vmcnt(2)
	v_lshrrev_b32_e32 v9, 16, v14
	v_add_u32_e32 v17, 0xa00, v0
	s_waitcnt lgkmcnt(0)
	v_add_f16_e32 v10, v6, v7
	v_add_f16_sdwa v11, v7, v6 dst_sel:DWORD dst_unused:UNUSED_PAD src0_sel:WORD_1 src1_sel:WORD_1
	v_sub_f16_e32 v12, v6, v7
	v_sub_f16_sdwa v6, v6, v7 dst_sel:DWORD dst_unused:UNUSED_PAD src0_sel:WORD_1 src1_sel:WORD_1
	v_fma_f16 v7, v12, v9, v10
	v_fma_f16 v13, v11, v9, v6
	v_fma_f16 v10, -v12, v9, v10
	v_fma_f16 v6, v11, v9, -v6
	v_fma_f16 v7, -v14, v11, v7
	v_fma_f16 v9, v12, v14, v13
	v_fma_f16 v10, v14, v11, v10
	v_fma_f16 v6, v12, v14, v6
	v_pack_b32_f16 v7, v7, v9
	v_pack_b32_f16 v6, v10, v6
	ds_write_b32 v0, v7 offset:2016
	ds_write_b32 v8, v6 offset:5040
	ds_read_b32 v6, v0 offset:2520
	ds_read_b32 v7, v8 offset:4536
	s_waitcnt vmcnt(1)
	v_lshrrev_b32_e32 v9, 16, v15
	s_waitcnt lgkmcnt(0)
	v_add_f16_e32 v10, v6, v7
	v_add_f16_sdwa v11, v7, v6 dst_sel:DWORD dst_unused:UNUSED_PAD src0_sel:WORD_1 src1_sel:WORD_1
	v_sub_f16_e32 v12, v6, v7
	v_sub_f16_sdwa v6, v6, v7 dst_sel:DWORD dst_unused:UNUSED_PAD src0_sel:WORD_1 src1_sel:WORD_1
	v_fma_f16 v7, v12, v9, v10
	v_fma_f16 v13, v11, v9, v6
	v_fma_f16 v10, -v12, v9, v10
	v_fma_f16 v6, v11, v9, -v6
	v_fma_f16 v7, -v15, v11, v7
	v_fma_f16 v9, v12, v15, v13
	v_fma_f16 v10, v15, v11, v10
	v_fma_f16 v6, v12, v15, v6
	v_pack_b32_f16 v7, v7, v9
	v_pack_b32_f16 v6, v10, v6
	ds_write_b32 v0, v7 offset:2520
	ds_write_b32 v8, v6 offset:4536
	ds_read_b32 v6, v0 offset:3024
	ds_read_b32 v7, v8 offset:4032
	s_waitcnt vmcnt(0)
	v_lshrrev_b32_e32 v9, 16, v16
	s_waitcnt lgkmcnt(0)
	v_add_f16_e32 v10, v6, v7
	v_add_f16_sdwa v11, v7, v6 dst_sel:DWORD dst_unused:UNUSED_PAD src0_sel:WORD_1 src1_sel:WORD_1
	v_sub_f16_e32 v12, v6, v7
	v_sub_f16_sdwa v6, v6, v7 dst_sel:DWORD dst_unused:UNUSED_PAD src0_sel:WORD_1 src1_sel:WORD_1
	v_fma_f16 v7, v12, v9, v10
	v_fma_f16 v13, v11, v9, v6
	v_fma_f16 v10, -v12, v9, v10
	v_fma_f16 v6, v11, v9, -v6
	v_fma_f16 v7, -v16, v11, v7
	v_fma_f16 v9, v12, v16, v13
	v_fma_f16 v10, v16, v11, v10
	;; [unrolled: 1-line block ×3, first 2 shown]
	v_pack_b32_f16 v7, v7, v9
	v_pack_b32_f16 v6, v10, v6
	ds_write_b32 v0, v7 offset:3024
	ds_write_b32 v8, v6 offset:4032
	s_waitcnt lgkmcnt(0)
	s_barrier
	s_barrier
	ds_read2_b32 v[6:7], v0 offset1:126
	ds_read2_b32 v[8:9], v17 offset0:116 offset1:242
	ds_read2_b32 v[11:12], v26 offset0:124 offset1:250
	;; [unrolled: 1-line block ×5, first 2 shown]
	s_waitcnt lgkmcnt(4)
	v_pk_add_f16 v21, v6, v9 neg_lo:[0,1] neg_hi:[0,1]
	ds_read2_b32 v[9:10], v24 offset0:112 offset1:238
	v_pk_fma_f16 v6, v6, 2.0, v21 op_sel_hi:[1,0,1] neg_lo:[0,0,1] neg_hi:[0,0,1]
	s_waitcnt lgkmcnt(0)
	s_barrier
	ds_write2_b32 v19, v6, v21 offset1:1
	v_pk_add_f16 v6, v7, v9 neg_lo:[0,1] neg_hi:[0,1]
	v_pk_fma_f16 v7, v7, 2.0, v6 op_sel_hi:[1,0,1] neg_lo:[0,0,1] neg_hi:[0,0,1]
	v_lshl_add_u32 v9, v18, 3, 0
	ds_write2_b32 v9, v7, v6 offset1:1
	v_pk_add_f16 v7, v11, v10 neg_lo:[0,1] neg_hi:[0,1]
	v_lshl_add_u32 v6, v20, 3, 0
	v_pk_fma_f16 v9, v11, 2.0, v7 op_sel_hi:[1,0,1] neg_lo:[0,0,1] neg_hi:[0,0,1]
	v_add_u32_e32 v21, 0x17a, v5
	ds_write2_b32 v6, v9, v7 offset1:1
	v_pk_add_f16 v7, v12, v13 neg_lo:[0,1] neg_hi:[0,1]
	v_pk_add_f16 v13, v16, v22 neg_lo:[0,1] neg_hi:[0,1]
	v_add_u32_e32 v19, 0x1f8, v5
	v_lshl_add_u32 v6, v21, 3, 0
	v_pk_fma_f16 v9, v12, 2.0, v7 op_sel_hi:[1,0,1] neg_lo:[0,0,1] neg_hi:[0,0,1]
	v_pk_add_f16 v11, v15, v14 neg_lo:[0,1] neg_hi:[0,1]
	v_pk_fma_f16 v14, v16, 2.0, v13 op_sel_hi:[1,0,1] neg_lo:[0,0,1] neg_hi:[0,0,1]
	v_pk_add_f16 v16, v8, v23 neg_lo:[0,1] neg_hi:[0,1]
	v_lshl_add_u32 v22, v30, 3, 0
	v_lshl_add_u32 v10, v19, 3, 0
	v_pk_fma_f16 v12, v15, 2.0, v11 op_sel_hi:[1,0,1] neg_lo:[0,0,1] neg_hi:[0,0,1]
	v_lshl_add_u32 v15, v29, 3, 0
	v_pk_fma_f16 v8, v8, 2.0, v16 op_sel_hi:[1,0,1] neg_lo:[0,0,1] neg_hi:[0,0,1]
	ds_write2_b32 v6, v9, v7 offset1:1
	ds_write2_b32 v10, v12, v11 offset1:1
	ds_write2_b32 v15, v14, v13 offset1:1
	ds_write2_b32 v22, v8, v16 offset1:1
	v_and_b32_e32 v22, 1, v5
	v_lshlrev_b32_e32 v6, 2, v22
	s_waitcnt lgkmcnt(0)
	s_barrier
	global_load_dword v23, v6, s[12:13]
	v_lshlrev_b32_e32 v6, 1, v5
	v_and_or_b32 v6, v6, s5, v22
	v_lshl_add_u32 v31, v6, 2, 0
	ds_read2_b32 v[6:7], v28 offset0:104 offset1:230
	ds_read2_b32 v[8:9], v27 offset0:108 offset1:234
	;; [unrolled: 1-line block ×5, first 2 shown]
	ds_read2_b32 v[16:17], v0 offset1:126
	ds_read2_b32 v[24:25], v26 offset0:124 offset1:250
	s_movk_i32 s5, 0x1fc
	s_waitcnt vmcnt(0) lgkmcnt(0)
	s_barrier
	v_pk_mul_f16 v32, v23, v7 op_sel:[0,1]
	v_pk_mul_f16 v33, v23, v6 op_sel:[0,1]
	v_pk_mul_f16 v34, v23, v9 op_sel:[0,1]
	v_pk_mul_f16 v35, v23, v8 op_sel:[0,1]
	v_pk_mul_f16 v36, v23, v11 op_sel:[0,1]
	v_pk_mul_f16 v37, v23, v10 op_sel:[0,1]
	v_pk_mul_f16 v38, v23, v13 op_sel:[0,1]
	v_pk_fma_f16 v39, v23, v7, v32 op_sel:[0,0,1] op_sel_hi:[1,1,0]
	v_pk_fma_f16 v7, v23, v7, v32 op_sel:[0,0,1] op_sel_hi:[1,0,0] neg_lo:[1,0,0] neg_hi:[1,0,0]
	v_pk_fma_f16 v32, v23, v6, v33 op_sel:[0,0,1] op_sel_hi:[1,1,0]
	v_pk_fma_f16 v6, v23, v6, v33 op_sel:[0,0,1] op_sel_hi:[1,0,0] neg_lo:[1,0,0] neg_hi:[1,0,0]
	;; [unrolled: 2-line block ×7, first 2 shown]
	v_bfi_b32 v13, s4, v37, v13
	v_pk_add_f16 v13, v16, v13 neg_lo:[0,1] neg_hi:[0,1]
	v_pk_fma_f16 v16, v16, 2.0, v13 op_sel_hi:[1,0,1] neg_lo:[0,0,1] neg_hi:[0,0,1]
	v_lshlrev_b32_e32 v23, 1, v18
	ds_write2_b32 v31, v16, v13 offset1:2
	v_lshlrev_b32_e32 v13, 1, v29
	v_and_or_b32 v29, v23, s5, v22
	s_movk_i32 s5, 0x3fc
	v_lshlrev_b32_e32 v23, 1, v20
	v_lshlrev_b32_e32 v16, 1, v30
	v_and_or_b32 v30, v23, s5, v22
	v_lshlrev_b32_e32 v23, 1, v21
	v_and_or_b32 v31, v23, s5, v22
	s_movk_i32 s5, 0x7fc
	v_lshlrev_b32_e32 v23, 1, v19
	v_bfi_b32 v7, s4, v39, v7
	v_bfi_b32 v6, s4, v32, v6
	;; [unrolled: 1-line block ×4, first 2 shown]
	v_and_or_b32 v37, v23, s5, v22
	v_pk_add_f16 v23, v12, v7 neg_lo:[0,1] neg_hi:[0,1]
	v_bfi_b32 v7, s4, v33, v9
	v_pk_add_f16 v6, v15, v6 neg_lo:[0,1] neg_hi:[0,1]
	v_bfi_b32 v8, s4, v34, v8
	v_pk_add_f16 v11, v24, v11 neg_lo:[0,1] neg_hi:[0,1]
	v_pk_add_f16 v10, v17, v10 neg_lo:[0,1] neg_hi:[0,1]
	v_and_or_b32 v13, v13, s6, v22
	v_and_or_b32 v16, v16, s5, v22
	v_pk_add_f16 v7, v14, v7 neg_lo:[0,1] neg_hi:[0,1]
	v_pk_fma_f16 v9, v15, 2.0, v6 op_sel_hi:[1,0,1] neg_lo:[0,0,1] neg_hi:[0,0,1]
	v_pk_add_f16 v8, v25, v8 neg_lo:[0,1] neg_hi:[0,1]
	v_pk_fma_f16 v15, v24, 2.0, v11 op_sel_hi:[1,0,1] neg_lo:[0,0,1] neg_hi:[0,0,1]
	v_pk_fma_f16 v17, v17, 2.0, v10 op_sel_hi:[1,0,1] neg_lo:[0,0,1] neg_hi:[0,0,1]
	v_lshl_add_u32 v24, v29, 2, 0
	v_pk_fma_f16 v22, v12, 2.0, v23 op_sel_hi:[1,0,1] neg_lo:[0,0,1] neg_hi:[0,0,1]
	v_pk_fma_f16 v12, v14, 2.0, v7 op_sel_hi:[1,0,1] neg_lo:[0,0,1] neg_hi:[0,0,1]
	;; [unrolled: 1-line block ×3, first 2 shown]
	v_lshl_add_u32 v25, v30, 2, 0
	v_lshl_add_u32 v29, v31, 2, 0
	;; [unrolled: 1-line block ×5, first 2 shown]
	ds_write2_b32 v24, v17, v10 offset1:2
	ds_write2_b32 v25, v15, v11 offset1:2
	;; [unrolled: 1-line block ×6, first 2 shown]
	v_add_u32_e32 v6, 0x800, v0
	s_waitcnt lgkmcnt(0)
	s_barrier
	ds_read2_b32 v[8:9], v0 offset1:126
	ds_read2_b32 v[16:17], v6 offset0:76 offset1:202
	ds_read2_b32 v[14:15], v27 offset0:24 offset1:150
	;; [unrolled: 1-line block ×3, first 2 shown]
	v_add_u32_e32 v10, 0xc00, v0
	ds_read2_b32 v[12:13], v10 offset0:72 offset1:198
	ds_read2_b32 v[10:11], v28 offset0:20 offset1:146
	s_movk_i32 s4, 0x54
	v_cmp_gt_u32_e32 vcc, s4, v5
	v_lshrrev_b32_e32 v26, 16, v22
	v_lshrrev_b32_e32 v24, 16, v23
                                        ; implicit-def: $vgpr27
                                        ; implicit-def: $vgpr25
	s_and_saveexec_b64 s[4:5], vcc
	s_cbranch_execz .LBB0_21
; %bb.20:
	ds_read_b32 v22, v0 offset:2016
	ds_read_b32 v23, v0 offset:4368
	;; [unrolled: 1-line block ×3, first 2 shown]
	s_waitcnt lgkmcnt(2)
	v_lshrrev_b32_e32 v26, 16, v22
	s_waitcnt lgkmcnt(1)
	v_lshrrev_b32_e32 v24, 16, v23
	;; [unrolled: 2-line block ×3, first 2 shown]
.LBB0_21:
	s_or_b64 exec, exec, s[4:5]
	v_and_b32_e32 v31, 3, v18
	v_and_b32_e32 v32, 3, v21
	v_lshlrev_b32_e32 v28, 3, v31
	v_lshlrev_b32_e32 v33, 3, v32
	global_load_dword v34, v33, s[12:13] offset:8
	global_load_ushort v35, v28, s[12:13] offset:8
	v_and_b32_e32 v28, 3, v5
	v_lshlrev_b32_e32 v36, 3, v28
	global_load_dwordx2 v[29:30], v36, s[12:13] offset:8
	global_load_dword v37, v33, s[12:13] offset:10
	global_load_dword v38, v33, s[12:13] offset:12
	global_load_ushort v39, v33, s[12:13] offset:14
	s_waitcnt lgkmcnt(4)
	v_lshrrev_b32_e32 v36, 16, v17
	v_lshrrev_b32_e32 v33, 16, v16
	s_mov_b32 s4, 0xbaee
	s_movk_i32 s5, 0x3aee
	s_waitcnt vmcnt(0) lgkmcnt(0)
	s_barrier
	v_mul_f16_sdwa v40, v34, v17 dst_sel:DWORD dst_unused:UNUSED_PAD src0_sel:WORD_1 src1_sel:DWORD
	v_fma_f16 v40, v35, v36, -v40
	v_mul_f16_sdwa v36, v34, v36 dst_sel:DWORD dst_unused:UNUSED_PAD src0_sel:WORD_1 src1_sel:DWORD
	v_fma_f16 v17, v35, v17, v36
	v_lshrrev_b32_e32 v36, 16, v15
	v_lshrrev_b32_e32 v41, 16, v37
	v_mul_f16_sdwa v42, v38, v15 dst_sel:DWORD dst_unused:UNUSED_PAD src0_sel:WORD_1 src1_sel:DWORD
	v_mul_f16_sdwa v35, v29, v33 dst_sel:DWORD dst_unused:UNUSED_PAD src0_sel:WORD_1 src1_sel:DWORD
	v_fma_f16 v42, v41, v36, -v42
	v_mul_f16_sdwa v36, v38, v36 dst_sel:DWORD dst_unused:UNUSED_PAD src0_sel:WORD_1 src1_sel:DWORD
	v_fma_f16 v35, v29, v16, v35
	v_mul_f16_sdwa v16, v29, v16 dst_sel:DWORD dst_unused:UNUSED_PAD src0_sel:WORD_1 src1_sel:DWORD
	v_fma_f16 v15, v41, v15, v36
	v_lshrrev_b32_e32 v36, 16, v14
	v_mul_f16_sdwa v41, v30, v36 dst_sel:DWORD dst_unused:UNUSED_PAD src0_sel:WORD_1 src1_sel:DWORD
	v_fma_f16 v16, v29, v33, -v16
	v_mul_f16_sdwa v33, v24, v29 dst_sel:DWORD dst_unused:UNUSED_PAD src0_sel:DWORD src1_sel:WORD_1
	v_fma_f16 v41, v30, v14, v41
	v_mul_f16_sdwa v14, v30, v14 dst_sel:DWORD dst_unused:UNUSED_PAD src0_sel:WORD_1 src1_sel:DWORD
	v_fma_f16 v33, v23, v29, v33
	v_mul_f16_sdwa v23, v23, v29 dst_sel:DWORD dst_unused:UNUSED_PAD src0_sel:DWORD src1_sel:WORD_1
	v_fma_f16 v14, v30, v36, -v14
	v_fma_f16 v36, v24, v29, -v23
	v_mul_f16_sdwa v23, v27, v30 dst_sel:DWORD dst_unused:UNUSED_PAD src0_sel:DWORD src1_sel:WORD_1
	v_fma_f16 v43, v25, v30, v23
	v_mul_f16_sdwa v23, v25, v30 dst_sel:DWORD dst_unused:UNUSED_PAD src0_sel:DWORD src1_sel:WORD_1
	v_fma_f16 v27, v27, v30, -v23
	v_lshrrev_b32_e32 v23, 16, v12
	v_mul_f16_sdwa v24, v29, v12 dst_sel:DWORD dst_unused:UNUSED_PAD src0_sel:WORD_1 src1_sel:DWORD
	v_fma_f16 v24, v29, v23, -v24
	v_mul_f16_sdwa v23, v29, v23 dst_sel:DWORD dst_unused:UNUSED_PAD src0_sel:WORD_1 src1_sel:DWORD
	v_lshrrev_b32_e32 v25, 16, v10
	v_mul_f16_sdwa v44, v30, v10 dst_sel:DWORD dst_unused:UNUSED_PAD src0_sel:WORD_1 src1_sel:DWORD
	v_fma_f16 v44, v30, v25, -v44
	v_mul_f16_sdwa v25, v30, v25 dst_sel:DWORD dst_unused:UNUSED_PAD src0_sel:WORD_1 src1_sel:DWORD
	v_fma_f16 v12, v29, v12, v23
	v_lshrrev_b32_e32 v23, 16, v13
	v_fma_f16 v10, v30, v10, v25
	v_mul_f16_e32 v25, v37, v23
	v_mul_f16_e32 v29, v37, v13
	v_fma_f16 v13, v34, v13, v25
	v_lshrrev_b32_e32 v25, 16, v11
	v_fma_f16 v23, v34, v23, -v29
	v_mul_f16_e32 v29, v39, v25
	v_mul_f16_e32 v30, v39, v11
	v_lshrrev_b32_e32 v34, 16, v8
	v_fma_f16 v11, v38, v11, v29
	v_fma_f16 v25, v38, v25, -v30
	v_add_f16_e32 v29, v35, v41
	v_sub_f16_e32 v38, v16, v14
	v_add_f16_e32 v39, v34, v16
	v_add_f16_e32 v16, v16, v14
	;; [unrolled: 1-line block ×3, first 2 shown]
	v_fma_f16 v29, v29, -0.5, v8
	v_add_f16_e32 v8, v8, v35
	v_sub_f16_e32 v35, v35, v41
	v_fma_f16 v16, v16, -0.5, v34
	v_fma_f16 v30, v30, -0.5, v9
	v_lshrrev_b32_e32 v37, 16, v9
	v_fma_f16 v34, v38, s4, v29
	v_fma_f16 v29, v38, s5, v29
	;; [unrolled: 1-line block ×4, first 2 shown]
	v_sub_f16_e32 v35, v40, v42
	v_add_f16_e32 v9, v9, v17
	v_add_f16_e32 v14, v39, v14
	v_fma_f16 v39, v35, s4, v30
	v_fma_f16 v30, v35, s5, v30
	v_add_f16_e32 v35, v37, v40
	v_add_f16_e32 v40, v40, v42
	v_fma_f16 v37, v40, -0.5, v37
	v_add_f16_e32 v9, v9, v15
	v_sub_f16_e32 v15, v17, v15
	v_fma_f16 v17, v15, s5, v37
	v_fma_f16 v15, v15, s4, v37
	v_lshrrev_b32_e32 v37, 2, v5
	v_mul_u32_u24_e32 v37, 12, v37
	v_or_b32_e32 v37, v37, v28
	v_add_f16_e32 v8, v8, v41
	v_lshl_add_u32 v37, v37, 2, 0
	v_pack_b32_f16 v16, v29, v16
	v_pack_b32_f16 v8, v8, v14
	v_add_f16_e32 v14, v12, v10
	v_pack_b32_f16 v34, v34, v38
	ds_write_b32 v37, v16 offset:32
	v_lshrrev_b32_e32 v16, 2, v18
	v_fma_f16 v14, v14, -0.5, v6
	ds_write2_b32 v37, v8, v34 offset1:4
	v_sub_f16_e32 v8, v24, v44
	v_mul_u32_u24_e32 v16, 12, v16
	v_add_f16_e32 v35, v35, v42
	v_fma_f16 v34, v8, s4, v14
	v_fma_f16 v8, v8, s5, v14
	v_lshrrev_b32_e32 v14, 16, v6
	v_or_b32_e32 v16, v16, v31
	v_add_f16_e32 v38, v14, v24
	v_add_f16_e32 v24, v24, v44
	;; [unrolled: 1-line block ×3, first 2 shown]
	v_lshl_add_u32 v16, v16, 2, 0
	v_pack_b32_f16 v9, v9, v35
	v_pack_b32_f16 v17, v39, v17
	v_fma_f16 v14, v24, -0.5, v14
	v_add_f16_e32 v6, v6, v10
	v_sub_f16_e32 v10, v12, v10
	ds_write2_b32 v16, v9, v17 offset1:4
	v_pack_b32_f16 v9, v30, v15
	v_fma_f16 v12, v10, s5, v14
	v_fma_f16 v10, v10, s4, v14
	v_add_f16_e32 v14, v13, v11
	ds_write_b32 v16, v9 offset:32
	v_lshrrev_b32_e32 v9, 2, v20
	v_fma_f16 v14, v14, -0.5, v7
	v_lshrrev_b32_e32 v24, 16, v7
	v_sub_f16_e32 v40, v23, v25
	v_mul_u32_u24_e32 v9, 12, v9
	v_add_f16_e32 v38, v38, v44
	v_add_f16_e32 v7, v7, v13
	v_fma_f16 v41, v40, s4, v14
	v_fma_f16 v14, v40, s5, v14
	v_add_f16_e32 v40, v24, v23
	v_add_f16_e32 v23, v23, v25
	v_or_b32_e32 v9, v9, v28
	v_fma_f16 v23, v23, -0.5, v24
	v_add_f16_e32 v7, v7, v11
	v_sub_f16_e32 v11, v13, v11
	v_lshl_add_u32 v9, v9, 2, 0
	v_pack_b32_f16 v6, v6, v38
	v_pack_b32_f16 v12, v34, v12
	v_fma_f16 v13, v11, s5, v23
	v_fma_f16 v11, v11, s4, v23
	v_add_f16_e32 v23, v33, v43
	ds_write2_b32 v9, v6, v12 offset1:4
	v_pack_b32_f16 v6, v8, v10
	v_add_f16_e32 v40, v40, v25
	v_fma_f16 v23, v23, -0.5, v22
	v_sub_f16_e32 v25, v36, v27
	ds_write_b32 v9, v6 offset:32
	v_lshrrev_b32_e32 v6, 2, v21
	v_fma_f16 v24, v25, s4, v23
	v_fma_f16 v25, v25, s5, v23
	v_add_f16_e32 v23, v26, v36
	v_mul_u32_u24_e32 v6, 12, v6
	v_add_f16_e32 v23, v23, v27
	v_add_f16_e32 v27, v36, v27
	v_or_b32_e32 v6, v6, v32
	v_fma_f16 v27, v27, -0.5, v26
	v_add_f16_e32 v22, v22, v33
	v_sub_f16_e32 v33, v33, v43
	v_lshl_add_u32 v6, v6, 2, 0
	v_pack_b32_f16 v7, v7, v40
	v_pack_b32_f16 v8, v41, v13
	v_add_f16_e32 v22, v22, v43
	v_fma_f16 v26, v33, s5, v27
	v_fma_f16 v27, v33, s4, v27
	ds_write2_b32 v6, v7, v8 offset1:4
	v_pack_b32_f16 v7, v14, v11
	ds_write_b32 v6, v7 offset:32
	s_and_saveexec_b64 s[4:5], vcc
	s_cbranch_execz .LBB0_23
; %bb.22:
	v_lshrrev_b32_e32 v6, 2, v19
	v_mul_u32_u24_e32 v6, 12, v6
	v_or_b32_e32 v6, v6, v28
	s_mov_b32 s6, 0x5040100
	v_lshl_add_u32 v6, v6, 2, 0
	v_perm_b32 v7, v23, v22, s6
	v_perm_b32 v8, v26, v24, s6
	ds_write2_b32 v6, v7, v8 offset1:4
	v_perm_b32 v7, v27, v25, s6
	ds_write_b32 v6, v7 offset:32
.LBB0_23:
	s_or_b64 exec, exec, s[4:5]
	v_add_u32_e32 v6, 0x800, v0
	s_waitcnt lgkmcnt(0)
	s_barrier
	ds_read2_b32 v[14:15], v6 offset0:76 offset1:202
	v_add_u32_e32 v6, 0x1200, v0
	ds_read2_b32 v[16:17], v6 offset0:24 offset1:150
	v_add_u32_e32 v6, 0x200, v0
	v_add_u32_e32 v10, 0xc00, v0
	;; [unrolled: 1-line block ×3, first 2 shown]
	ds_read2_b32 v[8:9], v0 offset1:126
	ds_read2_b32 v[6:7], v6 offset0:124 offset1:250
	ds_read2_b32 v[10:11], v10 offset0:72 offset1:198
	;; [unrolled: 1-line block ×3, first 2 shown]
	s_and_saveexec_b64 s[4:5], vcc
	s_cbranch_execz .LBB0_25
; %bb.24:
	ds_read_b32 v22, v0 offset:2016
	ds_read_b32 v24, v0 offset:4368
	;; [unrolled: 1-line block ×3, first 2 shown]
	s_waitcnt lgkmcnt(2)
	v_lshrrev_b32_e32 v23, 16, v22
	s_waitcnt lgkmcnt(1)
	v_lshrrev_b32_e32 v26, 16, v24
	;; [unrolled: 2-line block ×3, first 2 shown]
.LBB0_25:
	s_or_b64 exec, exec, s[4:5]
	s_movk_i32 s4, 0xab
	v_mul_lo_u16_sdwa v28, v5, s4 dst_sel:DWORD dst_unused:UNUSED_PAD src0_sel:BYTE_0 src1_sel:DWORD
	v_lshrrev_b16_e32 v34, 11, v28
	v_mul_lo_u16_e32 v28, 12, v34
	v_sub_u16_e32 v35, v5, v28
	v_mov_b32_e32 v30, 3
	v_mul_lo_u16_sdwa v31, v18, s4 dst_sel:DWORD dst_unused:UNUSED_PAD src0_sel:BYTE_0 src1_sel:DWORD
	s_mov_b32 s6, 0xaaab
	v_lshlrev_b32_sdwa v28, v30, v35 dst_sel:DWORD dst_unused:UNUSED_PAD src0_sel:DWORD src1_sel:BYTE_0
	v_lshrrev_b16_e32 v36, 11, v31
	v_mul_u32_u24_sdwa v32, v20, s6 dst_sel:DWORD dst_unused:UNUSED_PAD src0_sel:WORD_0 src1_sel:DWORD
	global_load_dwordx2 v[28:29], v28, s[12:13] offset:40
	v_mul_lo_u16_e32 v31, 12, v36
	v_lshrrev_b32_e32 v38, 19, v32
	v_sub_u16_e32 v37, v18, v31
	v_mul_lo_u16_e32 v32, 12, v38
	v_lshlrev_b32_sdwa v30, v30, v37 dst_sel:DWORD dst_unused:UNUSED_PAD src0_sel:DWORD src1_sel:BYTE_0
	v_sub_u16_e32 v39, v20, v32
	global_load_dwordx2 v[30:31], v30, s[12:13] offset:40
	v_lshlrev_b32_e32 v20, 3, v39
	global_load_dwordx2 v[32:33], v20, s[12:13] offset:40
	v_mul_u32_u24_sdwa v20, v21, s6 dst_sel:DWORD dst_unused:UNUSED_PAD src0_sel:WORD_0 src1_sel:DWORD
	v_lshrrev_b32_e32 v40, 19, v20
	v_mul_lo_u16_e32 v20, 12, v40
	v_sub_u16_e32 v41, v21, v20
	v_lshlrev_b32_e32 v20, 3, v41
	global_load_dwordx2 v[20:21], v20, s[12:13] offset:40
	s_waitcnt lgkmcnt(5)
	v_lshrrev_b32_e32 v43, 16, v14
	s_waitcnt lgkmcnt(4)
	v_lshrrev_b32_e32 v44, 16, v16
	v_lshrrev_b32_e32 v45, 16, v15
	s_waitcnt lgkmcnt(3)
	v_lshrrev_b32_e32 v42, 16, v8
	s_mov_b32 s7, 0xbaee
	s_movk_i32 s8, 0x3aee
	s_waitcnt vmcnt(0) lgkmcnt(0)
	s_barrier
	v_mul_f16_sdwa v47, v28, v14 dst_sel:DWORD dst_unused:UNUSED_PAD src0_sel:WORD_1 src1_sel:DWORD
	v_mul_f16_sdwa v46, v28, v43 dst_sel:DWORD dst_unused:UNUSED_PAD src0_sel:WORD_1 src1_sel:DWORD
	v_fma_f16 v43, v28, v43, -v47
	v_mul_f16_sdwa v47, v29, v16 dst_sel:DWORD dst_unused:UNUSED_PAD src0_sel:WORD_1 src1_sel:DWORD
	v_fma_f16 v47, v29, v44, -v47
	v_mul_f16_sdwa v44, v29, v44 dst_sel:DWORD dst_unused:UNUSED_PAD src0_sel:WORD_1 src1_sel:DWORD
	v_fma_f16 v14, v28, v14, v46
	v_fma_f16 v16, v29, v16, v44
	v_lshrrev_b32_e32 v28, 16, v17
	v_mul_f16_sdwa v29, v30, v45 dst_sel:DWORD dst_unused:UNUSED_PAD src0_sel:WORD_1 src1_sel:DWORD
	v_fma_f16 v29, v30, v15, v29
	v_mul_f16_sdwa v15, v30, v15 dst_sel:DWORD dst_unused:UNUSED_PAD src0_sel:WORD_1 src1_sel:DWORD
	v_mul_f16_sdwa v44, v31, v28 dst_sel:DWORD dst_unused:UNUSED_PAD src0_sel:WORD_1 src1_sel:DWORD
	v_fma_f16 v44, v31, v17, v44
	v_mul_f16_sdwa v17, v31, v17 dst_sel:DWORD dst_unused:UNUSED_PAD src0_sel:WORD_1 src1_sel:DWORD
	v_fma_f16 v15, v30, v45, -v15
	v_lshrrev_b32_e32 v30, 16, v10
	v_mul_f16_sdwa v45, v32, v10 dst_sel:DWORD dst_unused:UNUSED_PAD src0_sel:WORD_1 src1_sel:DWORD
	v_fma_f16 v17, v31, v28, -v17
	v_lshrrev_b32_e32 v28, 16, v12
	v_mul_f16_sdwa v31, v32, v30 dst_sel:DWORD dst_unused:UNUSED_PAD src0_sel:WORD_1 src1_sel:DWORD
	v_fma_f16 v30, v32, v30, -v45
	v_mul_f16_sdwa v45, v33, v12 dst_sel:DWORD dst_unused:UNUSED_PAD src0_sel:WORD_1 src1_sel:DWORD
	v_fma_f16 v45, v33, v28, -v45
	v_mul_f16_sdwa v28, v33, v28 dst_sel:DWORD dst_unused:UNUSED_PAD src0_sel:WORD_1 src1_sel:DWORD
	v_lshrrev_b32_e32 v46, 16, v13
	v_fma_f16 v12, v33, v12, v28
	v_lshrrev_b32_e32 v28, 16, v11
	v_fma_f16 v10, v32, v10, v31
	v_mul_f16_sdwa v31, v20, v28 dst_sel:DWORD dst_unused:UNUSED_PAD src0_sel:WORD_1 src1_sel:DWORD
	v_mul_f16_sdwa v32, v46, v21 dst_sel:DWORD dst_unused:UNUSED_PAD src0_sel:DWORD src1_sel:WORD_1
	v_fma_f16 v31, v20, v11, v31
	v_mul_f16_sdwa v11, v20, v11 dst_sel:DWORD dst_unused:UNUSED_PAD src0_sel:WORD_1 src1_sel:DWORD
	v_fma_f16 v32, v13, v21, v32
	v_mul_f16_sdwa v13, v13, v21 dst_sel:DWORD dst_unused:UNUSED_PAD src0_sel:DWORD src1_sel:WORD_1
	v_fma_f16 v11, v20, v28, -v11
	v_fma_f16 v13, v46, v21, -v13
	v_add_f16_e32 v21, v8, v14
	v_add_f16_e32 v28, v14, v16
	;; [unrolled: 1-line block ×3, first 2 shown]
	v_fma_f16 v8, v28, -0.5, v8
	v_fma_f16 v28, v46, -0.5, v9
	v_sub_f16_e32 v46, v43, v47
	v_sub_f16_e32 v14, v14, v16
	v_add_f16_e32 v16, v21, v16
	v_add_f16_e32 v21, v42, v43
	;; [unrolled: 1-line block ×3, first 2 shown]
	v_lshrrev_b32_e32 v33, 16, v9
	v_add_f16_e32 v21, v21, v47
	v_sub_f16_e32 v47, v15, v17
	v_fma_f16 v42, v43, -0.5, v42
	v_fma_f16 v43, v46, s7, v8
	v_fma_f16 v8, v46, s8, v8
	v_fma_f16 v46, v14, s8, v42
	v_fma_f16 v14, v14, s7, v42
	v_fma_f16 v42, v47, s7, v28
	v_fma_f16 v28, v47, s8, v28
	v_add_f16_e32 v47, v33, v15
	v_add_f16_e32 v15, v15, v17
	;; [unrolled: 1-line block ×3, first 2 shown]
	v_fma_f16 v15, v15, -0.5, v33
	v_sub_f16_e32 v17, v29, v44
	v_add_f16_e32 v9, v9, v29
	v_fma_f16 v29, v17, s8, v15
	v_fma_f16 v15, v17, s7, v15
	v_add_f16_e32 v17, v10, v12
	v_lshrrev_b32_e32 v20, 16, v6
	v_fma_f16 v17, v17, -0.5, v6
	v_sub_f16_e32 v33, v30, v45
	v_add_f16_e32 v9, v9, v44
	v_fma_f16 v44, v33, s7, v17
	v_fma_f16 v17, v33, s8, v17
	v_add_f16_e32 v33, v20, v30
	v_add_f16_e32 v30, v30, v45
	;; [unrolled: 1-line block ×3, first 2 shown]
	v_fma_f16 v20, v30, -0.5, v20
	v_add_f16_e32 v6, v6, v12
	v_sub_f16_e32 v10, v10, v12
	v_add_f16_e32 v12, v31, v32
	v_add_f16_e32 v33, v33, v45
	v_lshrrev_b32_e32 v45, 16, v7
	v_fma_f16 v30, v10, s8, v20
	v_fma_f16 v10, v10, s7, v20
	v_fma_f16 v12, v12, -0.5, v7
	v_sub_f16_e32 v20, v11, v13
	v_fma_f16 v48, v20, s7, v12
	v_fma_f16 v20, v20, s8, v12
	v_add_f16_e32 v12, v45, v11
	v_add_f16_e32 v11, v11, v13
	;; [unrolled: 1-line block ×3, first 2 shown]
	v_fma_f16 v11, v11, -0.5, v45
	v_sub_f16_e32 v12, v31, v32
	v_add_f16_e32 v7, v7, v31
	v_fma_f16 v13, v12, s8, v11
	v_fma_f16 v11, v12, s7, v11
	v_mov_b32_e32 v12, 2
	v_add_f16_e32 v7, v7, v32
	v_mul_u32_u24_e32 v31, 0x90, v34
	v_lshlrev_b32_sdwa v32, v12, v35 dst_sel:DWORD dst_unused:UNUSED_PAD src0_sel:DWORD src1_sel:BYTE_0
	v_add3_u32 v31, 0, v31, v32
	v_pack_b32_f16 v8, v8, v14
	ds_write_b32 v31, v8 offset:96
	v_mul_u32_u24_e32 v8, 0x90, v36
	v_lshlrev_b32_sdwa v14, v12, v37 dst_sel:DWORD dst_unused:UNUSED_PAD src0_sel:DWORD src1_sel:BYTE_0
	v_pack_b32_f16 v16, v16, v21
	v_pack_b32_f16 v21, v43, v46
	v_add3_u32 v8, 0, v8, v14
	v_pack_b32_f16 v9, v9, v47
	v_pack_b32_f16 v14, v42, v29
	ds_write2_b32 v31, v16, v21 offset1:12
	ds_write2_b32 v8, v9, v14 offset1:12
	v_pack_b32_f16 v9, v28, v15
	ds_write_b32 v8, v9 offset:96
	v_mul_u32_u24_e32 v8, 0x90, v38
	v_lshlrev_b32_e32 v9, 2, v39
	v_add3_u32 v8, 0, v8, v9
	v_pack_b32_f16 v6, v6, v33
	v_pack_b32_f16 v9, v44, v30
	ds_write2_b32 v8, v6, v9 offset1:12
	v_pack_b32_f16 v6, v17, v10
	ds_write_b32 v8, v6 offset:96
	v_mul_u32_u24_e32 v6, 0x90, v40
	v_lshlrev_b32_e32 v8, 2, v41
	v_add3_u32 v6, 0, v6, v8
	v_pack_b32_f16 v7, v7, v49
	v_pack_b32_f16 v8, v48, v13
	ds_write2_b32 v6, v7, v8 offset1:12
	v_pack_b32_f16 v7, v20, v11
	ds_write_b32 v6, v7 offset:96
	s_and_saveexec_b64 s[4:5], vcc
	s_cbranch_execz .LBB0_27
; %bb.26:
	v_mul_u32_u24_sdwa v6, v19, s6 dst_sel:DWORD dst_unused:UNUSED_PAD src0_sel:WORD_0 src1_sel:DWORD
	v_lshrrev_b32_e32 v8, 19, v6
	v_mul_lo_u16_e32 v6, 12, v8
	v_sub_u16_e32 v9, v19, v6
	v_lshlrev_b32_e32 v6, 3, v9
	global_load_dwordx2 v[6:7], v6, s[12:13] offset:40
	v_mul_lo_u16_e32 v8, 36, v8
	v_lshlrev_b32_e32 v8, 2, v8
	v_lshlrev_b32_e32 v9, 2, v9
	v_add3_u32 v8, 0, v9, v8
	s_waitcnt vmcnt(0)
	v_mul_f16_sdwa v9, v26, v6 dst_sel:DWORD dst_unused:UNUSED_PAD src0_sel:DWORD src1_sel:WORD_1
	v_mul_f16_sdwa v10, v27, v7 dst_sel:DWORD dst_unused:UNUSED_PAD src0_sel:DWORD src1_sel:WORD_1
	;; [unrolled: 1-line block ×4, first 2 shown]
	v_fma_f16 v9, v24, v6, v9
	v_fma_f16 v10, v25, v7, v10
	v_fma_f16 v6, v26, v6, -v11
	v_fma_f16 v7, v27, v7, -v13
	v_add_f16_e32 v13, v6, v7
	v_add_f16_e32 v14, v9, v10
	v_sub_f16_e32 v11, v9, v10
	v_sub_f16_e32 v15, v6, v7
	v_add_f16_e32 v6, v23, v6
	v_add_f16_e32 v9, v22, v9
	v_fma_f16 v13, v13, -0.5, v23
	v_fma_f16 v14, v14, -0.5, v22
	v_add_f16_e32 v6, v6, v7
	v_add_f16_e32 v7, v9, v10
	v_fma_f16 v9, v11, s8, v13
	v_fma_f16 v10, v15, s7, v14
	;; [unrolled: 1-line block ×4, first 2 shown]
	v_pack_b32_f16 v6, v7, v6
	v_pack_b32_f16 v7, v10, v9
	;; [unrolled: 1-line block ×3, first 2 shown]
	ds_write2_b32 v8, v6, v7 offset1:12
	ds_write_b32 v8, v9 offset:96
.LBB0_27:
	s_or_b64 exec, exec, s[4:5]
	v_mov_b32_e32 v6, 57
	v_mul_lo_u16_sdwa v7, v5, v6 dst_sel:DWORD dst_unused:UNUSED_PAD src0_sel:BYTE_0 src1_sel:DWORD
	v_lshrrev_b16_e32 v39, 11, v7
	v_mul_lo_u16_sdwa v6, v18, v6 dst_sel:DWORD dst_unused:UNUSED_PAD src0_sel:BYTE_0 src1_sel:DWORD
	v_mul_lo_u16_e32 v7, 36, v39
	v_lshrrev_b16_e32 v41, 11, v6
	v_sub_u16_e32 v40, v5, v7
	v_mov_b32_e32 v7, 6
	v_mul_lo_u16_e32 v6, 36, v41
	v_mul_u32_u24_sdwa v8, v40, v7 dst_sel:DWORD dst_unused:UNUSED_PAD src0_sel:BYTE_0 src1_sel:DWORD
	v_sub_u16_e32 v42, v18, v6
	v_lshlrev_b32_e32 v8, 2, v8
	v_mul_u32_u24_sdwa v6, v42, v7 dst_sel:DWORD dst_unused:UNUSED_PAD src0_sel:BYTE_0 src1_sel:DWORD
	s_waitcnt lgkmcnt(0)
	s_barrier
	global_load_dwordx4 v[13:16], v8, s[12:13] offset:136
	global_load_dwordx2 v[21:22], v8, s[12:13] offset:152
	v_lshlrev_b32_e32 v6, 2, v6
	global_load_dwordx4 v[17:20], v6, s[12:13] offset:136
	global_load_dwordx2 v[23:24], v6, s[12:13] offset:152
	v_add_u32_e32 v11, 0x200, v0
	ds_read2_b32 v[25:26], v0 offset1:126
	v_add_u32_e32 v10, 0x600, v0
	v_add_u32_e32 v9, 0xa00, v0
	;; [unrolled: 1-line block ×5, first 2 shown]
	ds_read2_b32 v[27:28], v11 offset0:124 offset1:250
	ds_read2_b32 v[29:30], v6 offset0:104 offset1:230
	ds_read2_b32 v[31:32], v10 offset0:120 offset1:246
	ds_read2_b32 v[33:34], v9 offset0:116 offset1:242
	ds_read2_b32 v[35:36], v8 offset0:112 offset1:238
	ds_read2_b32 v[37:38], v7 offset0:108 offset1:234
	s_waitcnt lgkmcnt(5)
	v_lshrrev_b32_e32 v50, 16, v27
	s_waitcnt lgkmcnt(3)
	v_lshrrev_b32_e32 v51, 16, v31
	;; [unrolled: 2-line block ×3, first 2 shown]
	v_lshrrev_b32_e32 v44, 16, v28
	v_lshrrev_b32_e32 v45, 16, v32
	;; [unrolled: 1-line block ×4, first 2 shown]
	s_waitcnt lgkmcnt(1)
	v_lshrrev_b32_e32 v53, 16, v35
	s_waitcnt lgkmcnt(0)
	v_lshrrev_b32_e32 v54, 16, v37
	v_lshrrev_b32_e32 v46, 16, v34
	;; [unrolled: 1-line block ×4, first 2 shown]
	s_movk_i32 s5, 0x2b26
	s_mov_b32 s4, 0xbb00
	s_mov_b32 s6, 0xbcab
	s_movk_i32 s7, 0x39e0
	s_mov_b32 s9, 0xb9e0
	s_mov_b32 s14, 0xb574
	s_movk_i32 s15, 0x3574
	s_mov_b32 s8, 0xb70e
	s_waitcnt vmcnt(0)
	s_barrier
	v_mul_f16_sdwa v55, v13, v50 dst_sel:DWORD dst_unused:UNUSED_PAD src0_sel:WORD_1 src1_sel:DWORD
	v_mul_f16_sdwa v56, v13, v27 dst_sel:DWORD dst_unused:UNUSED_PAD src0_sel:WORD_1 src1_sel:DWORD
	;; [unrolled: 1-line block ×7, first 2 shown]
	v_fma_f16 v50, v13, v50, -v56
	v_fma_f16 v51, v14, v51, -v58
	;; [unrolled: 1-line block ×3, first 2 shown]
	v_fma_f16 v13, v13, v27, v55
	v_fma_f16 v14, v14, v31, v57
	;; [unrolled: 1-line block ×3, first 2 shown]
	v_mul_f16_sdwa v27, v44, v17 dst_sel:DWORD dst_unused:UNUSED_PAD src0_sel:DWORD src1_sel:WORD_1
	v_mul_f16_sdwa v31, v28, v17 dst_sel:DWORD dst_unused:UNUSED_PAD src0_sel:DWORD src1_sel:WORD_1
	;; [unrolled: 1-line block ×3, first 2 shown]
	v_mul_f16_sdwa v61, v16, v53 dst_sel:DWORD dst_unused:UNUSED_PAD src0_sel:WORD_1 src1_sel:DWORD
	v_mul_f16_sdwa v56, v21, v54 dst_sel:DWORD dst_unused:UNUSED_PAD src0_sel:WORD_1 src1_sel:DWORD
	;; [unrolled: 1-line block ×3, first 2 shown]
	v_mul_f16_sdwa v60, v43, v22 dst_sel:DWORD dst_unused:UNUSED_PAD src0_sel:DWORD src1_sel:WORD_1
	v_fma_f16 v53, v16, v53, -v62
	v_mul_f16_sdwa v62, v29, v22 dst_sel:DWORD dst_unused:UNUSED_PAD src0_sel:DWORD src1_sel:WORD_1
	v_fma_f16 v27, v28, v17, v27
	v_fma_f16 v17, v44, v17, -v31
	v_fma_f16 v31, v32, v18, v33
	v_mul_f16_sdwa v33, v49, v24 dst_sel:DWORD dst_unused:UNUSED_PAD src0_sel:DWORD src1_sel:WORD_1
	v_fma_f16 v16, v16, v35, v61
	v_mul_f16_sdwa v35, v32, v18 dst_sel:DWORD dst_unused:UNUSED_PAD src0_sel:DWORD src1_sel:WORD_1
	v_fma_f16 v54, v21, v54, -v58
	v_mul_f16_sdwa v55, v46, v19 dst_sel:DWORD dst_unused:UNUSED_PAD src0_sel:DWORD src1_sel:WORD_1
	v_fma_f16 v43, v43, v22, -v62
	v_fma_f16 v21, v21, v37, v56
	v_fma_f16 v22, v29, v22, v60
	v_mul_f16_sdwa v29, v47, v20 dst_sel:DWORD dst_unused:UNUSED_PAD src0_sel:DWORD src1_sel:WORD_1
	v_fma_f16 v33, v30, v24, v33
	v_mul_f16_sdwa v30, v30, v24 dst_sel:DWORD dst_unused:UNUSED_PAD src0_sel:DWORD src1_sel:WORD_1
	v_mul_f16_sdwa v57, v34, v19 dst_sel:DWORD dst_unused:UNUSED_PAD src0_sel:DWORD src1_sel:WORD_1
	;; [unrolled: 1-line block ×4, first 2 shown]
	v_fma_f16 v18, v45, v18, -v35
	v_fma_f16 v32, v34, v19, v55
	v_fma_f16 v29, v36, v20, v29
	v_fma_f16 v24, v49, v24, -v30
	v_add_f16_e32 v30, v13, v22
	v_add_f16_e32 v34, v50, v43
	v_add_f16_e32 v35, v14, v21
	v_add_f16_e32 v36, v51, v54
	v_mul_f16_sdwa v56, v38, v23 dst_sel:DWORD dst_unused:UNUSED_PAD src0_sel:DWORD src1_sel:WORD_1
	v_fma_f16 v20, v47, v20, -v37
	v_fma_f16 v28, v38, v23, v28
	v_sub_f16_e32 v13, v13, v22
	v_sub_f16_e32 v22, v50, v43
	;; [unrolled: 1-line block ×4, first 2 shown]
	v_add_f16_e32 v37, v15, v16
	v_add_f16_e32 v38, v52, v53
	v_sub_f16_e32 v15, v16, v15
	v_sub_f16_e32 v16, v53, v52
	v_add_f16_e32 v43, v35, v30
	v_add_f16_e32 v44, v36, v34
	v_fma_f16 v19, v46, v19, -v57
	v_fma_f16 v23, v48, v23, -v56
	v_sub_f16_e32 v45, v35, v30
	v_sub_f16_e32 v46, v36, v34
	;; [unrolled: 1-line block ×6, first 2 shown]
	v_add_f16_e32 v47, v15, v14
	v_add_f16_e32 v48, v16, v21
	v_sub_f16_e32 v49, v15, v14
	v_sub_f16_e32 v50, v16, v21
	;; [unrolled: 1-line block ×4, first 2 shown]
	v_add_f16_e32 v37, v37, v43
	v_add_f16_e32 v38, v38, v44
	v_sub_f16_e32 v15, v13, v15
	v_sub_f16_e32 v16, v22, v16
	v_add_f16_e32 v13, v47, v13
	v_add_f16_e32 v22, v48, v22
	;; [unrolled: 1-line block ×3, first 2 shown]
	v_add_f16_sdwa v25, v38, v25 dst_sel:DWORD dst_unused:UNUSED_PAD src0_sel:DWORD src1_sel:WORD_1
	v_mul_f16_e32 v30, 0x3a52, v30
	v_mul_f16_e32 v34, 0x3a52, v34
	;; [unrolled: 1-line block ×8, first 2 shown]
	v_fma_f16 v37, v37, s6, v43
	v_fma_f16 v38, v38, s6, v25
	;; [unrolled: 1-line block ×4, first 2 shown]
	v_fma_f16 v44, v45, s7, -v44
	v_fma_f16 v47, v46, s7, -v47
	;; [unrolled: 1-line block ×4, first 2 shown]
	v_fma_f16 v45, v15, s14, v48
	v_fma_f16 v46, v16, s14, v49
	v_fma_f16 v14, v14, s4, -v48
	v_fma_f16 v15, v15, s15, -v50
	;; [unrolled: 1-line block ×4, first 2 shown]
	v_add_f16_e32 v35, v35, v37
	v_add_f16_e32 v36, v36, v38
	;; [unrolled: 1-line block ×6, first 2 shown]
	v_fma_f16 v37, v13, s8, v45
	v_fma_f16 v38, v22, s8, v46
	;; [unrolled: 1-line block ×6, first 2 shown]
	v_add_f16_e32 v16, v38, v35
	v_sub_f16_e32 v22, v36, v37
	v_add_f16_e32 v45, v15, v30
	v_sub_f16_e32 v46, v34, v13
	v_sub_f16_e32 v15, v30, v15
	v_add_f16_e32 v13, v13, v34
	v_sub_f16_e32 v30, v35, v38
	v_add_f16_e32 v34, v37, v36
	v_add_f16_e32 v35, v27, v33
	v_add_f16_e32 v36, v17, v24
	v_sub_f16_e32 v27, v27, v33
	v_sub_f16_e32 v17, v17, v24
	v_add_f16_e32 v24, v31, v28
	v_add_f16_e32 v33, v18, v23
	v_sub_f16_e32 v28, v31, v28
	v_sub_f16_e32 v18, v18, v23
	v_add_f16_e32 v23, v32, v29
	v_add_f16_e32 v31, v19, v20
	v_sub_f16_e32 v29, v29, v32
	v_sub_f16_e32 v19, v20, v19
	v_add_f16_e32 v20, v24, v35
	v_add_f16_e32 v32, v33, v36
	v_sub_f16_e32 v48, v44, v21
	v_add_f16_e32 v49, v14, v47
	v_add_f16_e32 v21, v21, v44
	v_sub_f16_e32 v14, v47, v14
	v_sub_f16_e32 v37, v24, v35
	;; [unrolled: 1-line block ×7, first 2 shown]
	v_add_f16_e32 v44, v29, v28
	v_add_f16_e32 v47, v19, v18
	v_sub_f16_e32 v50, v29, v28
	v_sub_f16_e32 v51, v19, v18
	;; [unrolled: 1-line block ×4, first 2 shown]
	v_add_f16_e32 v20, v23, v20
	v_add_f16_e32 v23, v31, v32
	v_sub_f16_e32 v29, v27, v29
	v_sub_f16_e32 v19, v17, v19
	v_add_f16_e32 v27, v44, v27
	v_add_f16_e32 v17, v47, v17
	;; [unrolled: 1-line block ×3, first 2 shown]
	v_add_f16_sdwa v26, v23, v26 dst_sel:DWORD dst_unused:UNUSED_PAD src0_sel:DWORD src1_sel:WORD_1
	v_mul_f16_e32 v32, 0x3a52, v35
	v_mul_f16_e32 v35, 0x3a52, v36
	;; [unrolled: 1-line block ×8, first 2 shown]
	v_fma_f16 v20, v20, s6, v31
	v_fma_f16 v23, v23, s6, v26
	;; [unrolled: 1-line block ×4, first 2 shown]
	v_fma_f16 v36, v37, s7, -v36
	v_fma_f16 v44, v38, s7, -v44
	;; [unrolled: 1-line block ×4, first 2 shown]
	v_fma_f16 v37, v29, s14, v47
	v_fma_f16 v38, v19, s14, v50
	v_fma_f16 v28, v28, s4, -v47
	v_fma_f16 v18, v18, s4, -v50
	;; [unrolled: 1-line block ×4, first 2 shown]
	v_add_f16_e32 v24, v24, v20
	v_add_f16_e32 v33, v33, v23
	;; [unrolled: 1-line block ×6, first 2 shown]
	v_fma_f16 v32, v27, s8, v37
	v_fma_f16 v35, v17, s8, v38
	;; [unrolled: 1-line block ×6, first 2 shown]
	v_add_f16_e32 v19, v35, v24
	v_sub_f16_e32 v29, v33, v32
	v_add_f16_e32 v37, v17, v20
	v_sub_f16_e32 v38, v23, v27
	v_sub_f16_e32 v17, v20, v17
	v_add_f16_e32 v20, v27, v23
	v_sub_f16_e32 v23, v24, v35
	v_add_f16_e32 v24, v32, v33
	v_mul_u32_u24_e32 v27, 0x3f0, v39
	v_lshlrev_b32_sdwa v32, v12, v40 dst_sel:DWORD dst_unused:UNUSED_PAD src0_sel:DWORD src1_sel:BYTE_0
	v_add3_u32 v27, 0, v27, v32
	v_pack_b32_f16 v14, v21, v14
	v_pack_b32_f16 v13, v15, v13
	ds_write2_b32 v27, v14, v13 offset0:144 offset1:180
	v_pack_b32_f16 v13, v30, v34
	v_pack_b32_f16 v25, v43, v25
	;; [unrolled: 1-line block ×3, first 2 shown]
	ds_write_b32 v27, v13 offset:864
	v_mul_u32_u24_e32 v13, 0x3f0, v41
	v_lshlrev_b32_sdwa v12, v12, v42 dst_sel:DWORD dst_unused:UNUSED_PAD src0_sel:DWORD src1_sel:BYTE_0
	v_sub_f16_e32 v47, v36, v18
	v_add_f16_e32 v50, v28, v44
	ds_write2_b32 v27, v25, v16 offset1:36
	v_pack_b32_f16 v16, v45, v46
	v_pack_b32_f16 v22, v48, v49
	v_add3_u32 v12, 0, v13, v12
	v_pack_b32_f16 v13, v31, v26
	v_pack_b32_f16 v14, v19, v29
	v_add_f16_e32 v18, v18, v36
	v_sub_f16_e32 v28, v44, v28
	ds_write2_b32 v27, v16, v22 offset0:72 offset1:108
	ds_write2_b32 v12, v13, v14 offset1:36
	v_pack_b32_f16 v13, v37, v38
	v_pack_b32_f16 v14, v47, v50
	ds_write2_b32 v12, v13, v14 offset0:72 offset1:108
	v_pack_b32_f16 v13, v18, v28
	v_pack_b32_f16 v14, v17, v20
	ds_write2_b32 v12, v13, v14 offset0:144 offset1:180
	v_pack_b32_f16 v13, v23, v24
	ds_write_b32 v12, v13 offset:864
	v_mul_u32_u24_e32 v12, 6, v5
	v_lshlrev_b32_e32 v24, 2, v12
	s_waitcnt lgkmcnt(0)
	s_barrier
	global_load_dwordx4 v[12:15], v24, s[12:13] offset:1000
	global_load_dwordx2 v[20:21], v24, s[12:13] offset:1016
	global_load_dwordx4 v[16:19], v24, s[12:13] offset:4024
	global_load_dwordx2 v[22:23], v24, s[12:13] offset:4040
	ds_read2_b32 v[24:25], v0 offset1:126
	ds_read2_b32 v[26:27], v11 offset0:124 offset1:250
	ds_read2_b32 v[28:29], v6 offset0:104 offset1:230
	;; [unrolled: 1-line block ×6, first 2 shown]
	s_waitcnt lgkmcnt(5)
	v_lshrrev_b32_e32 v45, 16, v26
	s_waitcnt lgkmcnt(4)
	v_lshrrev_b32_e32 v38, 16, v28
	v_lshrrev_b32_e32 v39, 16, v27
	s_waitcnt lgkmcnt(3)
	v_lshrrev_b32_e32 v40, 16, v31
	s_waitcnt lgkmcnt(2)
	;; [unrolled: 2-line block ×4, first 2 shown]
	v_lshrrev_b32_e32 v43, 16, v37
	v_lshrrev_b32_e32 v44, 16, v29
	s_waitcnt vmcnt(0)
	s_barrier
	v_mul_f16_sdwa v46, v12, v45 dst_sel:DWORD dst_unused:UNUSED_PAD src0_sel:WORD_1 src1_sel:DWORD
	v_fma_f16 v46, v12, v26, v46
	v_mul_f16_sdwa v26, v12, v26 dst_sel:DWORD dst_unused:UNUSED_PAD src0_sel:WORD_1 src1_sel:DWORD
	v_fma_f16 v12, v12, v45, -v26
	v_lshrrev_b32_e32 v26, 16, v30
	v_mul_f16_sdwa v45, v13, v26 dst_sel:DWORD dst_unused:UNUSED_PAD src0_sel:WORD_1 src1_sel:DWORD
	v_fma_f16 v45, v13, v30, v45
	v_mul_f16_sdwa v30, v13, v30 dst_sel:DWORD dst_unused:UNUSED_PAD src0_sel:WORD_1 src1_sel:DWORD
	v_fma_f16 v13, v13, v26, -v30
	v_lshrrev_b32_e32 v26, 16, v32
	;; [unrolled: 5-line block ×4, first 2 shown]
	v_mul_f16_sdwa v34, v20, v26 dst_sel:DWORD dst_unused:UNUSED_PAD src0_sel:WORD_1 src1_sel:DWORD
	v_fma_f16 v34, v20, v36, v34
	v_mul_f16_sdwa v36, v20, v36 dst_sel:DWORD dst_unused:UNUSED_PAD src0_sel:WORD_1 src1_sel:DWORD
	v_fma_f16 v20, v20, v26, -v36
	v_mul_f16_sdwa v26, v38, v21 dst_sel:DWORD dst_unused:UNUSED_PAD src0_sel:DWORD src1_sel:WORD_1
	v_fma_f16 v26, v28, v21, v26
	v_mul_f16_sdwa v28, v28, v21 dst_sel:DWORD dst_unused:UNUSED_PAD src0_sel:DWORD src1_sel:WORD_1
	v_fma_f16 v21, v38, v21, -v28
	v_mul_f16_sdwa v28, v39, v16 dst_sel:DWORD dst_unused:UNUSED_PAD src0_sel:DWORD src1_sel:WORD_1
	v_fma_f16 v28, v27, v16, v28
	v_mul_f16_sdwa v27, v27, v16 dst_sel:DWORD dst_unused:UNUSED_PAD src0_sel:DWORD src1_sel:WORD_1
	;; [unrolled: 4-line block ×5, first 2 shown]
	v_fma_f16 v19, v42, v19, -v35
	v_mul_f16_sdwa v35, v43, v22 dst_sel:DWORD dst_unused:UNUSED_PAD src0_sel:DWORD src1_sel:WORD_1
	v_mul_f16_sdwa v36, v37, v22 dst_sel:DWORD dst_unused:UNUSED_PAD src0_sel:DWORD src1_sel:WORD_1
	v_fma_f16 v35, v37, v22, v35
	v_fma_f16 v22, v43, v22, -v36
	v_mul_f16_sdwa v36, v44, v23 dst_sel:DWORD dst_unused:UNUSED_PAD src0_sel:DWORD src1_sel:WORD_1
	v_fma_f16 v36, v29, v23, v36
	v_mul_f16_sdwa v29, v29, v23 dst_sel:DWORD dst_unused:UNUSED_PAD src0_sel:DWORD src1_sel:WORD_1
	v_fma_f16 v23, v44, v23, -v29
	v_add_f16_e32 v29, v46, v26
	v_add_f16_e32 v37, v12, v21
	v_sub_f16_e32 v12, v12, v21
	v_add_f16_e32 v21, v45, v34
	v_add_f16_e32 v38, v13, v20
	v_sub_f16_e32 v26, v46, v26
	v_sub_f16_e32 v34, v45, v34
	;; [unrolled: 1-line block ×3, first 2 shown]
	v_add_f16_e32 v20, v30, v32
	v_add_f16_e32 v39, v14, v15
	v_sub_f16_e32 v30, v32, v30
	v_sub_f16_e32 v14, v15, v14
	v_add_f16_e32 v15, v21, v29
	v_add_f16_e32 v32, v38, v37
	v_sub_f16_e32 v40, v21, v29
	v_sub_f16_e32 v41, v38, v37
	;; [unrolled: 1-line block ×6, first 2 shown]
	v_add_f16_e32 v42, v30, v34
	v_add_f16_e32 v43, v14, v13
	v_sub_f16_e32 v44, v30, v34
	v_sub_f16_e32 v45, v14, v13
	;; [unrolled: 1-line block ×4, first 2 shown]
	v_add_f16_e32 v15, v20, v15
	v_add_f16_e32 v20, v39, v32
	v_sub_f16_e32 v30, v26, v30
	v_sub_f16_e32 v14, v12, v14
	v_add_f16_e32 v26, v42, v26
	v_add_f16_e32 v12, v43, v12
	;; [unrolled: 1-line block ×3, first 2 shown]
	v_add_f16_sdwa v24, v20, v24 dst_sel:DWORD dst_unused:UNUSED_PAD src0_sel:DWORD src1_sel:WORD_1
	v_mul_f16_e32 v29, 0x3a52, v29
	v_mul_f16_e32 v37, 0x3a52, v37
	;; [unrolled: 1-line block ×8, first 2 shown]
	v_fma_f16 v15, v15, s6, v32
	v_fma_f16 v20, v20, s6, v24
	;; [unrolled: 1-line block ×4, first 2 shown]
	v_fma_f16 v39, v40, s7, -v39
	v_fma_f16 v42, v41, s7, -v42
	;; [unrolled: 1-line block ×4, first 2 shown]
	v_fma_f16 v40, v30, s14, v43
	v_fma_f16 v41, v14, s14, v44
	v_fma_f16 v34, v34, s4, -v43
	v_fma_f16 v13, v13, s4, -v44
	;; [unrolled: 1-line block ×4, first 2 shown]
	v_add_f16_e32 v21, v21, v15
	v_add_f16_e32 v38, v38, v20
	;; [unrolled: 1-line block ×6, first 2 shown]
	v_fma_f16 v29, v26, s8, v40
	v_fma_f16 v37, v12, s8, v41
	;; [unrolled: 1-line block ×6, first 2 shown]
	v_add_f16_e32 v14, v37, v21
	v_sub_f16_e32 v30, v38, v29
	v_add_f16_e32 v40, v12, v15
	v_sub_f16_e32 v41, v20, v26
	v_sub_f16_e32 v12, v15, v12
	v_add_f16_e32 v15, v26, v20
	v_sub_f16_e32 v20, v21, v37
	v_add_f16_e32 v21, v29, v38
	v_add_f16_e32 v26, v28, v36
	;; [unrolled: 1-line block ×3, first 2 shown]
	v_sub_f16_e32 v28, v28, v36
	v_sub_f16_e32 v16, v16, v23
	v_add_f16_e32 v23, v27, v35
	v_add_f16_e32 v36, v17, v22
	v_sub_f16_e32 v27, v27, v35
	v_sub_f16_e32 v17, v17, v22
	v_add_f16_e32 v22, v31, v33
	v_add_f16_e32 v35, v18, v19
	;; [unrolled: 4-line block ×3, first 2 shown]
	v_sub_f16_e32 v43, v39, v13
	v_add_f16_e32 v44, v34, v42
	v_add_f16_e32 v13, v13, v39
	v_sub_f16_e32 v34, v42, v34
	v_sub_f16_e32 v37, v23, v26
	;; [unrolled: 1-line block ×7, first 2 shown]
	v_add_f16_e32 v39, v31, v27
	v_add_f16_e32 v42, v18, v17
	v_sub_f16_e32 v45, v31, v27
	v_sub_f16_e32 v46, v18, v17
	v_add_f16_e32 v19, v22, v19
	v_add_f16_e32 v22, v35, v33
	v_sub_f16_e32 v31, v28, v31
	v_sub_f16_e32 v18, v16, v18
	;; [unrolled: 1-line block ×4, first 2 shown]
	v_add_f16_e32 v28, v39, v28
	v_add_f16_e32 v16, v42, v16
	v_add_f16_e32 v33, v19, v25
	v_add_f16_sdwa v25, v22, v25 dst_sel:DWORD dst_unused:UNUSED_PAD src0_sel:DWORD src1_sel:WORD_1
	v_mul_f16_e32 v26, 0x3a52, v26
	v_mul_f16_e32 v29, 0x3a52, v29
	;; [unrolled: 1-line block ×8, first 2 shown]
	v_fma_f16 v19, v19, s6, v33
	v_fma_f16 v22, v22, s6, v25
	;; [unrolled: 1-line block ×4, first 2 shown]
	v_fma_f16 v35, v37, s7, -v35
	v_fma_f16 v39, v38, s7, -v39
	;; [unrolled: 1-line block ×4, first 2 shown]
	v_fma_f16 v37, v31, s14, v42
	v_fma_f16 v38, v18, s14, v45
	v_fma_f16 v27, v27, s4, -v42
	v_fma_f16 v17, v17, s4, -v45
	;; [unrolled: 1-line block ×4, first 2 shown]
	v_add_f16_e32 v23, v23, v19
	v_add_f16_e32 v36, v36, v22
	;; [unrolled: 1-line block ×6, first 2 shown]
	v_fma_f16 v26, v28, s8, v37
	v_fma_f16 v29, v16, s8, v38
	;; [unrolled: 1-line block ×6, first 2 shown]
	v_add_f16_e32 v18, v29, v23
	v_sub_f16_e32 v31, v36, v26
	v_pack_b32_f16 v24, v32, v24
	v_pack_b32_f16 v12, v12, v15
	;; [unrolled: 1-line block ×4, first 2 shown]
	v_add_f16_e32 v37, v16, v19
	v_sub_f16_e32 v38, v22, v28
	v_pack_b32_f16 v14, v14, v30
	ds_write2_b32 v0, v24, v20 offset1:126
	v_pack_b32_f16 v0, v18, v31
	v_sub_f16_e32 v42, v35, v17
	v_add_f16_e32 v45, v27, v39
	v_sub_f16_e32 v16, v19, v16
	v_add_f16_e32 v19, v28, v22
	;; [unrolled: 2-line block ×3, first 2 shown]
	v_pack_b32_f16 v26, v40, v41
	ds_write2_b32 v11, v14, v0 offset0:124 offset1:250
	v_pack_b32_f16 v0, v37, v38
	v_add_f16_e32 v17, v17, v35
	v_sub_f16_e32 v27, v39, v27
	v_pack_b32_f16 v28, v43, v44
	ds_write2_b32 v10, v26, v0 offset0:120 offset1:246
	v_pack_b32_f16 v0, v42, v45
	v_pack_b32_f16 v13, v13, v34
	ds_write2_b32 v9, v28, v0 offset0:116 offset1:242
	v_pack_b32_f16 v0, v17, v27
	ds_write2_b32 v8, v13, v0 offset0:112 offset1:238
	v_pack_b32_f16 v0, v16, v19
	ds_write2_b32 v7, v12, v0 offset0:108 offset1:234
	v_pack_b32_f16 v0, v22, v23
	ds_write2_b32 v6, v15, v0 offset0:104 offset1:230
	s_waitcnt lgkmcnt(0)
	s_barrier
	s_and_saveexec_b64 s[4:5], s[0:1]
	s_cbranch_execz .LBB0_29
; %bb.28:
	v_mul_lo_u32 v0, s3, v3
	v_mul_lo_u32 v6, s2, v4
	v_mad_u64_u32 v[3:4], s[0:1], s2, v3, 0
	v_lshl_add_u32 v9, v5, 2, 0
	ds_read2_b32 v[7:8], v9 offset1:126
	v_add3_u32 v4, v4, v6, v0
	v_lshlrev_b64 v[3:4], 2, v[3:4]
	v_mov_b32_e32 v0, s11
	v_add_co_u32_e32 v3, vcc, s10, v3
	v_addc_co_u32_e32 v4, vcc, v0, v4, vcc
	v_lshlrev_b64 v[0:1], 2, v[1:2]
	v_mov_b32_e32 v6, 0
	v_add_co_u32_e32 v10, vcc, v3, v0
	v_addc_co_u32_e32 v4, vcc, v4, v1, vcc
	v_lshlrev_b64 v[0:1], 2, v[5:6]
	v_add_u32_e32 v2, 0x200, v9
	v_add_co_u32_e32 v0, vcc, v10, v0
	v_addc_co_u32_e32 v1, vcc, v4, v1, vcc
	s_waitcnt lgkmcnt(0)
	global_store_dword v[0:1], v7, off
	v_add_u32_e32 v0, 0x7e, v5
	v_mov_b32_e32 v1, v6
	v_lshlrev_b64 v[0:1], 2, v[0:1]
	ds_read2_b32 v[2:3], v2 offset0:124 offset1:250
	v_add_co_u32_e32 v0, vcc, v10, v0
	v_addc_co_u32_e32 v1, vcc, v4, v1, vcc
	global_store_dword v[0:1], v8, off
	v_add_u32_e32 v0, 0xfc, v5
	v_mov_b32_e32 v1, v6
	v_lshlrev_b64 v[0:1], 2, v[0:1]
	v_add_co_u32_e32 v0, vcc, v10, v0
	v_addc_co_u32_e32 v1, vcc, v4, v1, vcc
	s_waitcnt lgkmcnt(0)
	global_store_dword v[0:1], v2, off
	v_add_u32_e32 v0, 0x17a, v5
	v_mov_b32_e32 v1, v6
	v_lshlrev_b64 v[0:1], 2, v[0:1]
	v_add_u32_e32 v2, 0x600, v9
	v_add_co_u32_e32 v0, vcc, v10, v0
	v_addc_co_u32_e32 v1, vcc, v4, v1, vcc
	global_store_dword v[0:1], v3, off
	v_add_u32_e32 v0, 0x1f8, v5
	v_mov_b32_e32 v1, v6
	ds_read2_b32 v[2:3], v2 offset0:120 offset1:246
	v_lshlrev_b64 v[0:1], 2, v[0:1]
	v_add_co_u32_e32 v0, vcc, v10, v0
	v_addc_co_u32_e32 v1, vcc, v4, v1, vcc
	s_waitcnt lgkmcnt(0)
	global_store_dword v[0:1], v2, off
	v_add_u32_e32 v0, 0x276, v5
	v_mov_b32_e32 v1, v6
	v_lshlrev_b64 v[0:1], 2, v[0:1]
	v_add_u32_e32 v2, 0xa00, v9
	v_add_co_u32_e32 v0, vcc, v10, v0
	v_addc_co_u32_e32 v1, vcc, v4, v1, vcc
	global_store_dword v[0:1], v3, off
	v_add_u32_e32 v0, 0x2f4, v5
	v_mov_b32_e32 v1, v6
	ds_read2_b32 v[2:3], v2 offset0:116 offset1:242
	;; [unrolled: 15-line block ×5, first 2 shown]
	v_lshlrev_b64 v[0:1], 2, v[0:1]
	v_add_u32_e32 v5, 0x666, v5
	v_add_co_u32_e32 v0, vcc, v10, v0
	v_addc_co_u32_e32 v1, vcc, v4, v1, vcc
	s_waitcnt lgkmcnt(0)
	global_store_dword v[0:1], v2, off
	v_lshlrev_b64 v[0:1], 2, v[5:6]
	v_add_co_u32_e32 v0, vcc, v10, v0
	v_addc_co_u32_e32 v1, vcc, v4, v1, vcc
	global_store_dword v[0:1], v3, off
.LBB0_29:
	s_endpgm
	.section	.rodata,"a",@progbits
	.p2align	6, 0x0
	.amdhsa_kernel fft_rtc_back_len1764_factors_2_2_3_3_7_7_wgs_126_tpt_126_halfLds_half_op_CI_CI_unitstride_sbrr_C2R_dirReg
		.amdhsa_group_segment_fixed_size 0
		.amdhsa_private_segment_fixed_size 0
		.amdhsa_kernarg_size 104
		.amdhsa_user_sgpr_count 6
		.amdhsa_user_sgpr_private_segment_buffer 1
		.amdhsa_user_sgpr_dispatch_ptr 0
		.amdhsa_user_sgpr_queue_ptr 0
		.amdhsa_user_sgpr_kernarg_segment_ptr 1
		.amdhsa_user_sgpr_dispatch_id 0
		.amdhsa_user_sgpr_flat_scratch_init 0
		.amdhsa_user_sgpr_private_segment_size 0
		.amdhsa_uses_dynamic_stack 0
		.amdhsa_system_sgpr_private_segment_wavefront_offset 0
		.amdhsa_system_sgpr_workgroup_id_x 1
		.amdhsa_system_sgpr_workgroup_id_y 0
		.amdhsa_system_sgpr_workgroup_id_z 0
		.amdhsa_system_sgpr_workgroup_info 0
		.amdhsa_system_vgpr_workitem_id 0
		.amdhsa_next_free_vgpr 63
		.amdhsa_next_free_sgpr 28
		.amdhsa_reserve_vcc 1
		.amdhsa_reserve_flat_scratch 0
		.amdhsa_float_round_mode_32 0
		.amdhsa_float_round_mode_16_64 0
		.amdhsa_float_denorm_mode_32 3
		.amdhsa_float_denorm_mode_16_64 3
		.amdhsa_dx10_clamp 1
		.amdhsa_ieee_mode 1
		.amdhsa_fp16_overflow 0
		.amdhsa_exception_fp_ieee_invalid_op 0
		.amdhsa_exception_fp_denorm_src 0
		.amdhsa_exception_fp_ieee_div_zero 0
		.amdhsa_exception_fp_ieee_overflow 0
		.amdhsa_exception_fp_ieee_underflow 0
		.amdhsa_exception_fp_ieee_inexact 0
		.amdhsa_exception_int_div_zero 0
	.end_amdhsa_kernel
	.text
.Lfunc_end0:
	.size	fft_rtc_back_len1764_factors_2_2_3_3_7_7_wgs_126_tpt_126_halfLds_half_op_CI_CI_unitstride_sbrr_C2R_dirReg, .Lfunc_end0-fft_rtc_back_len1764_factors_2_2_3_3_7_7_wgs_126_tpt_126_halfLds_half_op_CI_CI_unitstride_sbrr_C2R_dirReg
                                        ; -- End function
	.section	.AMDGPU.csdata,"",@progbits
; Kernel info:
; codeLenInByte = 10900
; NumSgprs: 32
; NumVgprs: 63
; ScratchSize: 0
; MemoryBound: 0
; FloatMode: 240
; IeeeMode: 1
; LDSByteSize: 0 bytes/workgroup (compile time only)
; SGPRBlocks: 3
; VGPRBlocks: 15
; NumSGPRsForWavesPerEU: 32
; NumVGPRsForWavesPerEU: 63
; Occupancy: 4
; WaveLimiterHint : 1
; COMPUTE_PGM_RSRC2:SCRATCH_EN: 0
; COMPUTE_PGM_RSRC2:USER_SGPR: 6
; COMPUTE_PGM_RSRC2:TRAP_HANDLER: 0
; COMPUTE_PGM_RSRC2:TGID_X_EN: 1
; COMPUTE_PGM_RSRC2:TGID_Y_EN: 0
; COMPUTE_PGM_RSRC2:TGID_Z_EN: 0
; COMPUTE_PGM_RSRC2:TIDIG_COMP_CNT: 0
	.type	__hip_cuid_3bc44a872949d849,@object ; @__hip_cuid_3bc44a872949d849
	.section	.bss,"aw",@nobits
	.globl	__hip_cuid_3bc44a872949d849
__hip_cuid_3bc44a872949d849:
	.byte	0                               ; 0x0
	.size	__hip_cuid_3bc44a872949d849, 1

	.ident	"AMD clang version 19.0.0git (https://github.com/RadeonOpenCompute/llvm-project roc-6.4.0 25133 c7fe45cf4b819c5991fe208aaa96edf142730f1d)"
	.section	".note.GNU-stack","",@progbits
	.addrsig
	.addrsig_sym __hip_cuid_3bc44a872949d849
	.amdgpu_metadata
---
amdhsa.kernels:
  - .args:
      - .actual_access:  read_only
        .address_space:  global
        .offset:         0
        .size:           8
        .value_kind:     global_buffer
      - .offset:         8
        .size:           8
        .value_kind:     by_value
      - .actual_access:  read_only
        .address_space:  global
        .offset:         16
        .size:           8
        .value_kind:     global_buffer
      - .actual_access:  read_only
        .address_space:  global
        .offset:         24
        .size:           8
        .value_kind:     global_buffer
      - .actual_access:  read_only
        .address_space:  global
        .offset:         32
        .size:           8
        .value_kind:     global_buffer
      - .offset:         40
        .size:           8
        .value_kind:     by_value
      - .actual_access:  read_only
        .address_space:  global
        .offset:         48
        .size:           8
        .value_kind:     global_buffer
      - .actual_access:  read_only
        .address_space:  global
        .offset:         56
        .size:           8
        .value_kind:     global_buffer
      - .offset:         64
        .size:           4
        .value_kind:     by_value
      - .actual_access:  read_only
        .address_space:  global
        .offset:         72
        .size:           8
        .value_kind:     global_buffer
      - .actual_access:  read_only
        .address_space:  global
        .offset:         80
        .size:           8
        .value_kind:     global_buffer
      - .actual_access:  read_only
        .address_space:  global
        .offset:         88
        .size:           8
        .value_kind:     global_buffer
      - .actual_access:  write_only
        .address_space:  global
        .offset:         96
        .size:           8
        .value_kind:     global_buffer
    .group_segment_fixed_size: 0
    .kernarg_segment_align: 8
    .kernarg_segment_size: 104
    .language:       OpenCL C
    .language_version:
      - 2
      - 0
    .max_flat_workgroup_size: 126
    .name:           fft_rtc_back_len1764_factors_2_2_3_3_7_7_wgs_126_tpt_126_halfLds_half_op_CI_CI_unitstride_sbrr_C2R_dirReg
    .private_segment_fixed_size: 0
    .sgpr_count:     32
    .sgpr_spill_count: 0
    .symbol:         fft_rtc_back_len1764_factors_2_2_3_3_7_7_wgs_126_tpt_126_halfLds_half_op_CI_CI_unitstride_sbrr_C2R_dirReg.kd
    .uniform_work_group_size: 1
    .uses_dynamic_stack: false
    .vgpr_count:     63
    .vgpr_spill_count: 0
    .wavefront_size: 64
amdhsa.target:   amdgcn-amd-amdhsa--gfx906
amdhsa.version:
  - 1
  - 2
...

	.end_amdgpu_metadata
